;; amdgpu-corpus repo=ROCm/rocFFT kind=compiled arch=gfx1030 opt=O3
	.text
	.amdgcn_target "amdgcn-amd-amdhsa--gfx1030"
	.amdhsa_code_object_version 6
	.protected	fft_rtc_fwd_len510_factors_17_2_3_5_wgs_238_tpt_34_halfLds_dp_ip_CI_sbrr_dirReg ; -- Begin function fft_rtc_fwd_len510_factors_17_2_3_5_wgs_238_tpt_34_halfLds_dp_ip_CI_sbrr_dirReg
	.globl	fft_rtc_fwd_len510_factors_17_2_3_5_wgs_238_tpt_34_halfLds_dp_ip_CI_sbrr_dirReg
	.p2align	8
	.type	fft_rtc_fwd_len510_factors_17_2_3_5_wgs_238_tpt_34_halfLds_dp_ip_CI_sbrr_dirReg,@function
fft_rtc_fwd_len510_factors_17_2_3_5_wgs_238_tpt_34_halfLds_dp_ip_CI_sbrr_dirReg: ; @fft_rtc_fwd_len510_factors_17_2_3_5_wgs_238_tpt_34_halfLds_dp_ip_CI_sbrr_dirReg
; %bb.0:
	s_clause 0x1
	s_load_dwordx2 s[14:15], s[4:5], 0x18
	s_load_dwordx4 s[8:11], s[4:5], 0x0
	v_mul_u32_u24_e32 v1, 0x788, v0
	v_mov_b32_e32 v3, 0
	s_load_dwordx2 s[12:13], s[4:5], 0x50
	s_waitcnt lgkmcnt(0)
	s_load_dwordx2 s[2:3], s[14:15], 0x0
	v_lshrrev_b32_e32 v1, 16, v1
	v_cmp_lt_u64_e64 s0, s[10:11], 2
	v_mad_u64_u32 v[56:57], null, s6, 7, v[1:2]
	v_mov_b32_e32 v57, v3
	v_mov_b32_e32 v1, 0
	;; [unrolled: 1-line block ×3, first 2 shown]
	s_and_b32 vcc_lo, exec_lo, s0
	v_mov_b32_e32 v7, v56
	v_mov_b32_e32 v8, v57
	s_cbranch_vccnz .LBB0_8
; %bb.1:
	s_load_dwordx2 s[0:1], s[4:5], 0x10
	v_mov_b32_e32 v1, 0
	v_mov_b32_e32 v5, v56
	s_add_u32 s6, s14, 8
	v_mov_b32_e32 v2, 0
	v_mov_b32_e32 v6, v57
	s_addc_u32 s7, s15, 0
	s_mov_b64 s[18:19], 1
	s_waitcnt lgkmcnt(0)
	s_add_u32 s16, s0, 8
	s_addc_u32 s17, s1, 0
.LBB0_2:                                ; =>This Inner Loop Header: Depth=1
	s_load_dwordx2 s[20:21], s[16:17], 0x0
                                        ; implicit-def: $vgpr7_vgpr8
	s_mov_b32 s0, exec_lo
	s_waitcnt lgkmcnt(0)
	v_or_b32_e32 v4, s21, v6
	v_cmpx_ne_u64_e32 0, v[3:4]
	s_xor_b32 s1, exec_lo, s0
	s_cbranch_execz .LBB0_4
; %bb.3:                                ;   in Loop: Header=BB0_2 Depth=1
	v_cvt_f32_u32_e32 v4, s20
	v_cvt_f32_u32_e32 v7, s21
	s_sub_u32 s0, 0, s20
	s_subb_u32 s22, 0, s21
	v_fmac_f32_e32 v4, 0x4f800000, v7
	v_rcp_f32_e32 v4, v4
	v_mul_f32_e32 v4, 0x5f7ffffc, v4
	v_mul_f32_e32 v7, 0x2f800000, v4
	v_trunc_f32_e32 v7, v7
	v_fmac_f32_e32 v4, 0xcf800000, v7
	v_cvt_u32_f32_e32 v7, v7
	v_cvt_u32_f32_e32 v4, v4
	v_mul_lo_u32 v8, s0, v7
	v_mul_hi_u32 v9, s0, v4
	v_mul_lo_u32 v10, s22, v4
	v_add_nc_u32_e32 v8, v9, v8
	v_mul_lo_u32 v9, s0, v4
	v_add_nc_u32_e32 v8, v8, v10
	v_mul_hi_u32 v10, v4, v9
	v_mul_lo_u32 v11, v4, v8
	v_mul_hi_u32 v12, v4, v8
	v_mul_hi_u32 v13, v7, v9
	v_mul_lo_u32 v9, v7, v9
	v_mul_hi_u32 v14, v7, v8
	v_mul_lo_u32 v8, v7, v8
	v_add_co_u32 v10, vcc_lo, v10, v11
	v_add_co_ci_u32_e32 v11, vcc_lo, 0, v12, vcc_lo
	v_add_co_u32 v9, vcc_lo, v10, v9
	v_add_co_ci_u32_e32 v9, vcc_lo, v11, v13, vcc_lo
	v_add_co_ci_u32_e32 v10, vcc_lo, 0, v14, vcc_lo
	v_add_co_u32 v8, vcc_lo, v9, v8
	v_add_co_ci_u32_e32 v9, vcc_lo, 0, v10, vcc_lo
	v_add_co_u32 v4, vcc_lo, v4, v8
	v_add_co_ci_u32_e32 v7, vcc_lo, v7, v9, vcc_lo
	v_mul_hi_u32 v8, s0, v4
	v_mul_lo_u32 v10, s22, v4
	v_mul_lo_u32 v9, s0, v7
	v_add_nc_u32_e32 v8, v8, v9
	v_mul_lo_u32 v9, s0, v4
	v_add_nc_u32_e32 v8, v8, v10
	v_mul_hi_u32 v10, v4, v9
	v_mul_lo_u32 v11, v4, v8
	v_mul_hi_u32 v12, v4, v8
	v_mul_hi_u32 v13, v7, v9
	v_mul_lo_u32 v9, v7, v9
	v_mul_hi_u32 v14, v7, v8
	v_mul_lo_u32 v8, v7, v8
	v_add_co_u32 v10, vcc_lo, v10, v11
	v_add_co_ci_u32_e32 v11, vcc_lo, 0, v12, vcc_lo
	v_add_co_u32 v9, vcc_lo, v10, v9
	v_add_co_ci_u32_e32 v9, vcc_lo, v11, v13, vcc_lo
	v_add_co_ci_u32_e32 v10, vcc_lo, 0, v14, vcc_lo
	v_add_co_u32 v8, vcc_lo, v9, v8
	v_add_co_ci_u32_e32 v9, vcc_lo, 0, v10, vcc_lo
	v_add_co_u32 v4, vcc_lo, v4, v8
	v_add_co_ci_u32_e32 v11, vcc_lo, v7, v9, vcc_lo
	v_mul_hi_u32 v13, v5, v4
	v_mad_u64_u32 v[9:10], null, v6, v4, 0
	v_mad_u64_u32 v[7:8], null, v5, v11, 0
	v_mad_u64_u32 v[11:12], null, v6, v11, 0
	v_add_co_u32 v4, vcc_lo, v13, v7
	v_add_co_ci_u32_e32 v7, vcc_lo, 0, v8, vcc_lo
	v_add_co_u32 v4, vcc_lo, v4, v9
	v_add_co_ci_u32_e32 v4, vcc_lo, v7, v10, vcc_lo
	v_add_co_ci_u32_e32 v7, vcc_lo, 0, v12, vcc_lo
	v_add_co_u32 v4, vcc_lo, v4, v11
	v_add_co_ci_u32_e32 v9, vcc_lo, 0, v7, vcc_lo
	v_mul_lo_u32 v10, s21, v4
	v_mad_u64_u32 v[7:8], null, s20, v4, 0
	v_mul_lo_u32 v11, s20, v9
	v_sub_co_u32 v7, vcc_lo, v5, v7
	v_add3_u32 v8, v8, v11, v10
	v_sub_nc_u32_e32 v10, v6, v8
	v_subrev_co_ci_u32_e64 v10, s0, s21, v10, vcc_lo
	v_add_co_u32 v11, s0, v4, 2
	v_add_co_ci_u32_e64 v12, s0, 0, v9, s0
	v_sub_co_u32 v13, s0, v7, s20
	v_sub_co_ci_u32_e32 v8, vcc_lo, v6, v8, vcc_lo
	v_subrev_co_ci_u32_e64 v10, s0, 0, v10, s0
	v_cmp_le_u32_e32 vcc_lo, s20, v13
	v_cmp_eq_u32_e64 s0, s21, v8
	v_cndmask_b32_e64 v13, 0, -1, vcc_lo
	v_cmp_le_u32_e32 vcc_lo, s21, v10
	v_cndmask_b32_e64 v14, 0, -1, vcc_lo
	v_cmp_le_u32_e32 vcc_lo, s20, v7
	;; [unrolled: 2-line block ×3, first 2 shown]
	v_cndmask_b32_e64 v15, 0, -1, vcc_lo
	v_cmp_eq_u32_e32 vcc_lo, s21, v10
	v_cndmask_b32_e64 v7, v15, v7, s0
	v_cndmask_b32_e32 v10, v14, v13, vcc_lo
	v_add_co_u32 v13, vcc_lo, v4, 1
	v_add_co_ci_u32_e32 v14, vcc_lo, 0, v9, vcc_lo
	v_cmp_ne_u32_e32 vcc_lo, 0, v10
	v_cndmask_b32_e32 v8, v14, v12, vcc_lo
	v_cndmask_b32_e32 v10, v13, v11, vcc_lo
	v_cmp_ne_u32_e32 vcc_lo, 0, v7
	v_cndmask_b32_e32 v8, v9, v8, vcc_lo
	v_cndmask_b32_e32 v7, v4, v10, vcc_lo
.LBB0_4:                                ;   in Loop: Header=BB0_2 Depth=1
	s_andn2_saveexec_b32 s0, s1
	s_cbranch_execz .LBB0_6
; %bb.5:                                ;   in Loop: Header=BB0_2 Depth=1
	v_cvt_f32_u32_e32 v4, s20
	s_sub_i32 s1, 0, s20
	v_rcp_iflag_f32_e32 v4, v4
	v_mul_f32_e32 v4, 0x4f7ffffe, v4
	v_cvt_u32_f32_e32 v4, v4
	v_mul_lo_u32 v7, s1, v4
	v_mul_hi_u32 v7, v4, v7
	v_add_nc_u32_e32 v4, v4, v7
	v_mul_hi_u32 v4, v5, v4
	v_mul_lo_u32 v7, v4, s20
	v_add_nc_u32_e32 v8, 1, v4
	v_sub_nc_u32_e32 v7, v5, v7
	v_subrev_nc_u32_e32 v9, s20, v7
	v_cmp_le_u32_e32 vcc_lo, s20, v7
	v_cndmask_b32_e32 v7, v7, v9, vcc_lo
	v_cndmask_b32_e32 v4, v4, v8, vcc_lo
	v_cmp_le_u32_e32 vcc_lo, s20, v7
	v_add_nc_u32_e32 v8, 1, v4
	v_cndmask_b32_e32 v7, v4, v8, vcc_lo
	v_mov_b32_e32 v8, v3
.LBB0_6:                                ;   in Loop: Header=BB0_2 Depth=1
	s_or_b32 exec_lo, exec_lo, s0
	s_load_dwordx2 s[0:1], s[6:7], 0x0
	v_mul_lo_u32 v4, v8, s20
	v_mul_lo_u32 v11, v7, s21
	v_mad_u64_u32 v[9:10], null, v7, s20, 0
	s_add_u32 s18, s18, 1
	s_addc_u32 s19, s19, 0
	s_add_u32 s6, s6, 8
	s_addc_u32 s7, s7, 0
	s_add_u32 s16, s16, 8
	s_addc_u32 s17, s17, 0
	v_add3_u32 v4, v10, v11, v4
	v_sub_co_u32 v5, vcc_lo, v5, v9
	v_sub_co_ci_u32_e32 v4, vcc_lo, v6, v4, vcc_lo
	s_waitcnt lgkmcnt(0)
	v_mul_lo_u32 v6, s1, v5
	v_mul_lo_u32 v4, s0, v4
	v_mad_u64_u32 v[1:2], null, s0, v5, v[1:2]
	v_cmp_ge_u64_e64 s0, s[18:19], s[10:11]
	s_and_b32 vcc_lo, exec_lo, s0
	v_add3_u32 v2, v6, v2, v4
	s_cbranch_vccnz .LBB0_8
; %bb.7:                                ;   in Loop: Header=BB0_2 Depth=1
	v_mov_b32_e32 v5, v7
	v_mov_b32_e32 v6, v8
	s_branch .LBB0_2
.LBB0_8:
	s_lshl_b64 s[0:1], s[10:11], 3
	v_mul_hi_u32 v3, 0x7878788, v0
	s_add_u32 s0, s14, s0
	s_addc_u32 s1, s15, s1
                                        ; implicit-def: $vgpr10_vgpr11
                                        ; implicit-def: $vgpr14_vgpr15
                                        ; implicit-def: $vgpr18_vgpr19
                                        ; implicit-def: $vgpr22_vgpr23
                                        ; implicit-def: $vgpr42_vgpr43
                                        ; implicit-def: $vgpr46_vgpr47
                                        ; implicit-def: $vgpr50_vgpr51
                                        ; implicit-def: $vgpr54_vgpr55
                                        ; implicit-def: $vgpr74_vgpr75
                                        ; implicit-def: $vgpr82_vgpr83
                                        ; implicit-def: $vgpr70_vgpr71
                                        ; implicit-def: $vgpr78_vgpr79
                                        ; implicit-def: $vgpr30_vgpr31
                                        ; implicit-def: $vgpr34_vgpr35
                                        ; implicit-def: $vgpr38_vgpr39
                                        ; implicit-def: $vgpr26_vgpr27
	s_load_dwordx2 s[0:1], s[0:1], 0x0
	s_load_dwordx2 s[4:5], s[4:5], 0x20
	v_mul_u32_u24_e32 v3, 34, v3
	v_sub_nc_u32_e32 v140, v0, v3
	s_waitcnt lgkmcnt(0)
	v_mul_lo_u32 v4, s0, v8
	v_mul_lo_u32 v5, s1, v7
	v_mad_u64_u32 v[1:2], null, s0, v7, v[1:2]
	v_cmp_gt_u64_e32 vcc_lo, s[4:5], v[7:8]
	v_cmp_gt_u32_e64 s0, 30, v140
                                        ; implicit-def: $vgpr6_vgpr7
	s_and_b32 s1, vcc_lo, s0
	v_add3_u32 v2, v5, v2, v4
	v_lshlrev_b64 v[100:101], 4, v[1:2]
	s_and_saveexec_b32 s4, s1
	s_cbranch_execz .LBB0_10
; %bb.9:
	v_add_nc_u32_e32 v10, 30, v140
	v_add_nc_u32_e32 v11, 60, v140
	v_mad_u64_u32 v[0:1], null, s2, v140, 0
	v_add_nc_u32_e32 v12, 0x5a, v140
	v_mad_u64_u32 v[2:3], null, s2, v10, 0
	v_mad_u64_u32 v[4:5], null, s2, v11, 0
	;; [unrolled: 1-line block ×3, first 2 shown]
	v_add_nc_u32_e32 v13, 0x78, v140
	v_add_nc_u32_e32 v16, 0x96, v140
	v_mad_u64_u32 v[8:9], null, s3, v140, v[1:2]
	v_mad_u64_u32 v[9:10], null, s3, v10, v[3:4]
	v_add_co_u32 v44, s1, s12, v100
	v_add_co_ci_u32_e64 v45, s1, s13, v101, s1
	v_mov_b32_e32 v1, v8
	v_add_nc_u32_e32 v17, 0xb4, v140
	v_mov_b32_e32 v3, v9
	v_mad_u64_u32 v[8:9], null, s3, v11, v[5:6]
	v_lshlrev_b64 v[0:1], 4, v[0:1]
	v_mad_u64_u32 v[14:15], null, s2, v17, 0
	v_lshlrev_b64 v[2:3], 4, v[2:3]
	v_add_nc_u32_e32 v19, 0x12c, v140
	v_add_nc_u32_e32 v22, 0x14a, v140
	v_mad_u64_u32 v[9:10], null, s3, v12, v[7:8]
	v_mad_u64_u32 v[10:11], null, s2, v13, 0
	v_mov_b32_e32 v5, v8
	v_add_co_u32 v0, s1, v44, v0
	v_add_co_ci_u32_e64 v1, s1, v45, v1, s1
	v_mov_b32_e32 v7, v9
	v_mov_b32_e32 v8, v11
	v_lshlrev_b64 v[4:5], 4, v[4:5]
	v_add_co_u32 v2, s1, v44, v2
	v_lshlrev_b64 v[6:7], 4, v[6:7]
	v_mad_u64_u32 v[8:9], null, s3, v13, v[8:9]
	v_mad_u64_u32 v[12:13], null, s2, v16, 0
	v_add_co_ci_u32_e64 v3, s1, v45, v3, s1
	v_add_co_u32 v4, s1, v44, v4
	v_add_co_ci_u32_e64 v5, s1, v45, v5, s1
	v_mov_b32_e32 v9, v13
	v_mov_b32_e32 v11, v8
	v_add_co_u32 v6, s1, v44, v6
	v_add_co_ci_u32_e64 v7, s1, v45, v7, s1
	v_mad_u64_u32 v[8:9], null, s3, v16, v[9:10]
	v_add_nc_u32_e32 v16, 0xd2, v140
	s_clause 0x3
	global_load_dwordx4 v[24:27], v[0:1], off
	global_load_dwordx4 v[36:39], v[2:3], off
	;; [unrolled: 1-line block ×4, first 2 shown]
	v_mov_b32_e32 v2, v15
	v_lshlrev_b64 v[0:1], 4, v[10:11]
	v_add_nc_u32_e32 v11, 0xf0, v140
	v_mad_u64_u32 v[3:4], null, s2, v16, 0
	v_mov_b32_e32 v13, v8
	v_add_nc_u32_e32 v40, 0x186, v140
	v_mad_u64_u32 v[8:9], null, s2, v11, 0
	v_add_co_u32 v0, s1, v44, v0
	v_mad_u64_u32 v[5:6], null, s3, v17, v[2:3]
	v_lshlrev_b64 v[6:7], 4, v[12:13]
	v_mov_b32_e32 v2, v4
	v_add_co_ci_u32_e64 v1, s1, v45, v1, s1
	v_add_nc_u32_e32 v42, 0x1a4, v140
	v_add_nc_u32_e32 v46, 0x1c2, v140
	v_mov_b32_e32 v15, v5
	v_mad_u64_u32 v[4:5], null, s3, v16, v[2:3]
	v_add_co_u32 v5, s1, v44, v6
	v_mov_b32_e32 v2, v9
	v_add_co_ci_u32_e64 v6, s1, v45, v7, s1
	v_add_nc_u32_e32 v7, 0x10e, v140
	v_lshlrev_b64 v[9:10], 4, v[14:15]
	v_mad_u64_u32 v[11:12], null, s3, v11, v[2:3]
	v_lshlrev_b64 v[2:3], 4, v[3:4]
	v_mad_u64_u32 v[12:13], null, s2, v7, 0
	v_add_co_u32 v14, s1, v44, v9
	v_add_co_ci_u32_e64 v15, s1, v45, v10, s1
	v_mov_b32_e32 v9, v11
	v_mad_u64_u32 v[10:11], null, s2, v19, 0
	v_mov_b32_e32 v4, v13
	v_add_co_u32 v2, s1, v44, v2
	v_add_co_ci_u32_e64 v3, s1, v45, v3, s1
	v_mad_u64_u32 v[16:17], null, s3, v7, v[4:5]
	v_mad_u64_u32 v[17:18], null, s2, v22, 0
	v_mov_b32_e32 v4, v11
	v_lshlrev_b64 v[7:8], 4, v[8:9]
	s_clause 0x3
	global_load_dwordx4 v[76:79], v[0:1], off
	global_load_dwordx4 v[68:71], v[5:6], off
	;; [unrolled: 1-line block ×4, first 2 shown]
	v_mov_b32_e32 v13, v16
	v_add_nc_u32_e32 v16, 0x168, v140
	v_mad_u64_u32 v[19:20], null, s3, v19, v[4:5]
	v_mov_b32_e32 v4, v18
	v_lshlrev_b64 v[12:13], 4, v[12:13]
	v_mad_u64_u32 v[20:21], null, s2, v16, 0
	v_add_co_u32 v7, s1, v44, v7
	v_mad_u64_u32 v[22:23], null, s3, v22, v[4:5]
	v_mov_b32_e32 v11, v19
	v_add_co_ci_u32_e64 v8, s1, v45, v8, s1
	v_mov_b32_e32 v4, v21
	v_add_co_u32 v12, s1, v44, v12
	v_mov_b32_e32 v18, v22
	v_lshlrev_b64 v[9:10], 4, v[10:11]
	v_mad_u64_u32 v[21:22], null, s3, v16, v[4:5]
	v_mad_u64_u32 v[22:23], null, s2, v42, 0
	v_lshlrev_b64 v[16:17], 4, v[17:18]
	v_mad_u64_u32 v[18:19], null, s2, v40, 0
	v_add_co_ci_u32_e64 v13, s1, v45, v13, s1
	v_add_co_u32 v9, s1, v44, v9
	v_mov_b32_e32 v11, v23
	v_add_co_ci_u32_e64 v10, s1, v45, v10, s1
	v_mov_b32_e32 v4, v19
	v_lshlrev_b64 v[19:20], 4, v[20:21]
	v_add_co_u32 v16, s1, v44, v16
	v_add_co_ci_u32_e64 v17, s1, v45, v17, s1
	v_mad_u64_u32 v[40:41], null, s3, v40, v[4:5]
	v_mad_u64_u32 v[41:42], null, s3, v42, v[11:12]
	;; [unrolled: 1-line block ×3, first 2 shown]
	v_or_b32_e32 v11, 0x1e0, v140
	v_add_co_u32 v57, s1, v44, v19
	v_add_co_ci_u32_e64 v58, s1, v45, v20, s1
	v_mad_u64_u32 v[20:21], null, s2, v11, 0
	v_mov_b32_e32 v4, v43
	v_mov_b32_e32 v19, v40
	;; [unrolled: 1-line block ×3, first 2 shown]
	s_clause 0x1
	global_load_dwordx4 v[52:55], v[7:8], off
	global_load_dwordx4 v[48:51], v[12:13], off
	v_mad_u64_u32 v[0:1], null, s3, v46, v[4:5]
	v_lshlrev_b64 v[2:3], 4, v[18:19]
	v_mov_b32_e32 v1, v21
	v_mad_u64_u32 v[4:5], null, s3, v11, v[1:2]
	v_mov_b32_e32 v43, v0
	v_lshlrev_b64 v[5:6], 4, v[22:23]
	v_add_co_u32 v0, s1, v44, v2
	v_add_co_ci_u32_e64 v1, s1, v45, v3, s1
	v_mov_b32_e32 v21, v4
	v_lshlrev_b64 v[2:3], 4, v[42:43]
	v_add_co_u32 v4, s1, v44, v5
	v_add_co_ci_u32_e64 v5, s1, v45, v6, s1
	v_lshlrev_b64 v[14:15], 4, v[20:21]
	v_add_co_u32 v2, s1, v44, v2
	v_add_co_ci_u32_e64 v3, s1, v45, v3, s1
	v_add_co_u32 v6, s1, v44, v14
	v_add_co_ci_u32_e64 v7, s1, v45, v15, s1
	s_clause 0x6
	global_load_dwordx4 v[44:47], v[9:10], off
	global_load_dwordx4 v[40:43], v[16:17], off
	;; [unrolled: 1-line block ×7, first 2 shown]
.LBB0_10:
	s_or_b32 exec_lo, exec_lo, s4
	s_waitcnt vmcnt(0)
	v_add_f64 v[57:58], v[4:5], v[36:37]
	s_mov_b32 s4, 0x75d4884
	s_mov_b32 s18, 0x2b2883cd
	;; [unrolled: 1-line block ×4, first 2 shown]
	v_add_f64 v[84:85], v[38:39], -v[6:7]
	v_add_f64 v[59:60], v[8:9], v[32:33]
	s_mov_b32 s24, 0x2a9d6da3
	s_mov_b32 s6, 0x3259b75e
	;; [unrolled: 1-line block ×8, first 2 shown]
	v_add_f64 v[108:109], v[34:35], -v[10:11]
	v_add_f64 v[90:91], v[12:13], v[28:29]
	s_mov_b32 s34, 0xeb564b22
	s_mov_b32 s30, 0x6c9a05f6
	;; [unrolled: 1-line block ×5, first 2 shown]
	v_mul_f64 v[88:89], v[57:58], s[4:5]
	v_mul_f64 v[96:97], v[57:58], s[18:19]
	s_mov_b32 s11, 0xbfef7484
	v_add_f64 v[114:115], v[30:31], -v[14:15]
	v_add_f64 v[94:95], v[16:17], v[76:77]
	s_mov_b32 s40, 0xacd6c6b4
	v_mul_f64 v[92:93], v[59:60], s[6:7]
	v_mul_f64 v[98:99], v[59:60], s[14:15]
	s_mov_b32 s16, 0xc61f0d01
	s_mov_b32 s41, 0x3fc7851a
	;; [unrolled: 1-line block ×3, first 2 shown]
	v_add_f64 v[120:121], v[78:79], -v[18:19]
	v_add_f64 v[61:62], v[20:21], v[68:69]
	s_mov_b32 s42, 0x923c349f
	s_mov_b32 s20, 0x910ea3b9
	;; [unrolled: 1-line block ×3, first 2 shown]
	v_mul_f64 v[104:105], v[90:91], s[14:15]
	v_mul_f64 v[112:113], v[90:91], s[10:11]
	s_mov_b32 s43, 0x3feec746
	s_mov_b32 s21, 0xbfeb34fa
	;; [unrolled: 1-line block ×3, first 2 shown]
	v_add_f64 v[102:103], v[70:71], -v[22:23]
	v_fma_f64 v[0:1], v[84:85], s[24:25], v[88:89]
	v_fma_f64 v[2:3], v[84:85], s[28:29], v[96:97]
	s_mov_b32 s46, 0x4363dd80
	s_mov_b32 s22, 0x370991
	v_mul_f64 v[118:119], v[94:95], s[10:11]
	v_mul_f64 v[122:123], v[94:95], s[16:17]
	v_fma_f64 v[63:64], v[108:109], s[34:35], v[92:93]
	v_fma_f64 v[65:66], v[108:109], s[30:31], v[98:99]
	s_mov_b32 s47, 0x3fe0d888
	s_mov_b32 s37, 0x3fe58eea
	;; [unrolled: 1-line block ×4, first 2 shown]
	v_mul_f64 v[126:127], v[61:62], s[20:21]
	v_mul_f64 v[130:131], v[61:62], s[4:5]
	v_add_f64 v[110:111], v[82:83], -v[42:43]
	s_mov_b32 s38, 0x5d8e7cdc
	v_fma_f64 v[86:87], v[114:115], s[30:31], v[104:105]
	v_fma_f64 v[106:107], v[114:115], s[40:41], v[112:113]
	s_mov_b32 s39, 0xbfd71e95
	s_mov_b32 s49, 0x3feca52d
	;; [unrolled: 1-line block ×3, first 2 shown]
	v_mul_hi_u32 v67, 0x24924925, v56
	v_add_f64 v[0:1], v[24:25], v[0:1]
	v_add_f64 v[2:3], v[24:25], v[2:3]
	s_mov_b32 s51, 0x3fd71e95
	s_mov_b32 s45, 0xbfe0d888
	v_fma_f64 v[116:117], v[120:121], s[26:27], v[118:119]
	v_fma_f64 v[124:125], v[120:121], s[42:43], v[122:123]
	s_mov_b32 s50, s38
	s_mov_b32 s44, s46
	v_fma_f64 v[128:129], v[102:103], s[36:37], v[130:131]
	v_add_f64 v[0:1], v[63:64], v[0:1]
	v_add_f64 v[2:3], v[65:66], v[2:3]
	;; [unrolled: 1-line block ×6, first 2 shown]
	v_mul_f64 v[132:133], v[63:64], s[16:17]
	v_mul_f64 v[138:139], v[63:64], s[22:23]
	v_fma_f64 v[106:107], v[102:103], s[46:47], v[126:127]
	v_add_f64 v[86:87], v[48:49], v[52:53]
	v_mul_f64 v[134:135], v[65:66], s[18:19]
	v_mul_f64 v[136:137], v[65:66], s[6:7]
	v_add_f64 v[0:1], v[116:117], v[0:1]
	v_add_f64 v[2:3], v[124:125], v[2:3]
	v_add_f64 v[124:125], v[74:75], -v[46:47]
	v_fma_f64 v[141:142], v[110:111], s[42:43], v[132:133]
	v_fma_f64 v[143:144], v[110:111], s[38:39], v[138:139]
	v_mul_f64 v[116:117], v[86:87], s[20:21]
	v_add_f64 v[0:1], v[106:107], v[0:1]
	v_add_f64 v[2:3], v[128:129], v[2:3]
	v_add_f64 v[128:129], v[54:55], -v[50:51]
	v_mul_f64 v[106:107], v[86:87], s[22:23]
	v_fma_f64 v[145:146], v[124:125], s[48:49], v[134:135]
	v_fma_f64 v[147:148], v[124:125], s[34:35], v[136:137]
	v_add_f64 v[0:1], v[141:142], v[0:1]
	v_add_f64 v[2:3], v[143:144], v[2:3]
	v_fma_f64 v[143:144], v[128:129], s[44:45], v[116:117]
	v_fma_f64 v[141:142], v[128:129], s[50:51], v[106:107]
	v_add_f64 v[0:1], v[145:146], v[0:1]
	v_add_f64 v[145:146], v[147:148], v[2:3]
	v_sub_nc_u32_e32 v2, v56, v67
	v_lshrrev_b32_e32 v2, 1, v2
	v_add_nc_u32_e32 v2, v2, v67
	v_lshrrev_b32_e32 v2, 2, v2
	v_mul_lo_u32 v67, v2, 7
	v_add_f64 v[2:3], v[141:142], v[0:1]
	v_add_f64 v[0:1], v[143:144], v[145:146]
	v_sub_nc_u32_e32 v56, v56, v67
	v_mul_u32_u24_e32 v56, 0x1fe, v56
	v_lshlrev_b32_e32 v141, 3, v56
	s_and_saveexec_b32 s1, s0
	s_cbranch_execz .LBB0_12
; %bb.11:
	v_add_f64 v[142:143], v[36:37], v[24:25]
	v_mul_f64 v[148:149], v[84:85], s[44:45]
	v_mul_f64 v[200:201], v[84:85], s[28:29]
	v_mul_f64 v[214:215], v[84:85], s[24:25]
	v_mul_f64 v[144:145], v[84:85], s[26:27]
	v_mul_f64 v[152:153], v[84:85], s[30:31]
	s_mov_b32 s53, 0xbfeec746
	s_mov_b32 s52, s42
	v_mul_f64 v[156:157], v[84:85], s[34:35]
	v_mul_f64 v[222:223], v[84:85], s[38:39]
	;; [unrolled: 1-line block ×5, first 2 shown]
	s_mov_b32 s55, 0x3fe9895b
	s_mov_b32 s54, s30
	v_mul_f64 v[198:199], v[108:109], s[30:31]
	v_mul_f64 v[216:217], v[108:109], s[34:35]
	;; [unrolled: 1-line block ×7, first 2 shown]
	v_add_f64 v[142:143], v[32:33], v[142:143]
	v_fma_f64 v[246:247], v[57:58], s[20:21], v[148:149]
	v_add_f64 v[96:97], v[96:97], -v[200:201]
	v_add_f64 v[88:89], v[88:89], -v[214:215]
	v_mul_f64 v[162:163], v[114:115], s[44:45]
	v_mul_f64 v[164:165], v[114:115], s[34:35]
	;; [unrolled: 1-line block ×18, first 2 shown]
	v_add_f64 v[142:143], v[28:29], v[142:143]
	v_mul_f64 v[224:225], v[120:121], s[34:35]
	v_mul_f64 v[228:229], v[124:125], s[34:35]
	;; [unrolled: 1-line block ×3, first 2 shown]
	v_fma_f64 v[242:243], v[57:58], s[10:11], v[144:145]
	v_fma_f64 v[144:145], v[57:58], s[10:11], -v[144:145]
	v_fma_f64 v[148:149], v[57:58], s[20:21], -v[148:149]
	v_fma_f64 v[250:251], v[57:58], s[14:15], v[152:153]
	v_fma_f64 v[152:153], v[57:58], s[14:15], -v[152:153]
	v_fma_f64 v[254:255], v[57:58], s[6:7], v[156:157]
	v_fma_f64 v[156:157], v[57:58], s[6:7], -v[156:157]
	v_add_f64 v[132:133], v[132:133], -v[226:227]
	v_add_f64 v[226:227], v[24:25], v[246:247]
	v_fma_f64 v[246:247], v[57:58], s[22:23], v[222:223]
	v_fma_f64 v[222:223], v[57:58], s[22:23], -v[222:223]
	v_add_f64 v[134:135], v[134:135], -v[230:231]
	v_fma_f64 v[230:231], v[57:58], s[16:17], v[84:85]
	v_fma_f64 v[56:57], v[57:58], s[16:17], -v[84:85]
	v_add_f64 v[98:99], v[98:99], -v[198:199]
	v_add_f64 v[92:93], v[92:93], -v[216:217]
	v_add_f64 v[96:97], v[24:25], v[96:97]
	v_add_f64 v[88:89], v[24:25], v[88:89]
	;; [unrolled: 1-line block ×3, first 2 shown]
	v_fma_f64 v[244:245], v[59:60], s[22:23], v[146:147]
	v_fma_f64 v[146:147], v[59:60], s[22:23], -v[146:147]
	v_fma_f64 v[248:249], v[59:60], s[18:19], v[150:151]
	v_fma_f64 v[150:151], v[59:60], s[18:19], -v[150:151]
	;; [unrolled: 2-line block ×3, first 2 shown]
	v_add_f64 v[112:113], v[112:113], -v[196:197]
	v_fma_f64 v[196:197], v[59:60], s[10:11], v[158:159]
	v_fma_f64 v[158:159], v[59:60], s[10:11], -v[158:159]
	v_fma_f64 v[198:199], v[59:60], s[20:21], v[160:161]
	v_fma_f64 v[160:161], v[59:60], s[20:21], -v[160:161]
	;; [unrolled: 2-line block ×3, first 2 shown]
	v_add_f64 v[122:123], v[122:123], -v[206:207]
	v_fma_f64 v[206:207], v[90:91], s[6:7], v[164:165]
	v_fma_f64 v[164:165], v[90:91], s[6:7], -v[164:165]
	v_add_f64 v[130:131], v[130:131], -v[208:209]
	v_fma_f64 v[208:209], v[90:91], s[22:23], v[166:167]
	v_fma_f64 v[166:167], v[90:91], s[22:23], -v[166:167]
	v_add_f64 v[138:139], v[138:139], -v[210:211]
	v_fma_f64 v[210:211], v[90:91], s[16:17], v[168:169]
	v_add_f64 v[142:143], v[68:69], v[142:143]
	v_fma_f64 v[168:169], v[90:91], s[16:17], -v[168:169]
	v_add_f64 v[104:105], v[104:105], -v[212:213]
	v_fma_f64 v[212:213], v[90:91], s[4:5], v[170:171]
	v_fma_f64 v[170:171], v[90:91], s[4:5], -v[170:171]
	v_fma_f64 v[214:215], v[94:95], s[4:5], v[172:173]
	v_fma_f64 v[172:173], v[94:95], s[4:5], -v[172:173]
	v_fma_f64 v[216:217], v[94:95], s[20:21], v[174:175]
	v_fma_f64 v[174:175], v[94:95], s[20:21], -v[174:175]
	v_add_f64 v[118:119], v[118:119], -v[218:219]
	v_fma_f64 v[218:219], v[94:95], s[22:23], v[176:177]
	v_fma_f64 v[176:177], v[94:95], s[22:23], -v[176:177]
	v_add_f64 v[126:127], v[126:127], -v[220:221]
	v_fma_f64 v[220:221], v[90:91], s[18:19], v[114:115]
	v_fma_f64 v[90:91], v[90:91], s[18:19], -v[114:115]
	v_fma_f64 v[114:115], v[59:60], s[4:5], v[108:109]
	v_add_f64 v[242:243], v[24:25], v[242:243]
	v_fma_f64 v[59:60], v[59:60], s[4:5], -v[108:109]
	v_fma_f64 v[108:109], v[94:95], s[18:19], v[178:179]
	v_add_f64 v[144:145], v[24:25], v[144:145]
	v_fma_f64 v[178:179], v[94:95], s[18:19], -v[178:179]
	v_add_f64 v[148:149], v[24:25], v[148:149]
	v_add_f64 v[142:143], v[80:81], v[142:143]
	v_add_f64 v[136:137], v[136:137], -v[228:229]
	v_fma_f64 v[228:229], v[94:95], s[6:7], v[224:225]
	v_fma_f64 v[224:225], v[94:95], s[6:7], -v[224:225]
	v_fma_f64 v[84:85], v[94:95], s[14:15], v[120:121]
	v_fma_f64 v[94:95], v[94:95], s[14:15], -v[120:121]
	v_add_f64 v[120:121], v[24:25], v[152:153]
	v_add_f64 v[250:251], v[24:25], v[250:251]
	;; [unrolled: 1-line block ×12, first 2 shown]
	s_mov_b32 s57, 0x3fefdd0d
	v_add_f64 v[144:145], v[146:147], v[144:145]
	s_mov_b32 s56, s34
	v_add_f64 v[148:149], v[150:151], v[148:149]
	v_add_f64 v[142:143], v[72:73], v[142:143]
	v_mul_f64 v[180:181], v[102:103], s[30:31]
	v_mul_f64 v[182:183], v[102:103], s[38:39]
	;; [unrolled: 1-line block ×5, first 2 shown]
	v_add_f64 v[120:121], v[154:155], v[120:121]
	v_add_f64 v[250:251], v[252:253], v[250:251]
	;; [unrolled: 1-line block ×10, first 2 shown]
	v_mul_f64 v[102:103], v[102:103], s[52:53]
	v_add_f64 v[200:201], v[200:201], v[242:243]
	v_add_f64 v[206:207], v[206:207], v[226:227]
	;; [unrolled: 1-line block ×3, first 2 shown]
	v_mul_f64 v[188:189], v[110:111], s[48:49]
	v_add_f64 v[148:149], v[164:165], v[148:149]
	v_add_f64 v[142:143], v[52:53], v[142:143]
	v_mul_f64 v[190:191], v[110:111], s[26:27]
	v_mul_f64 v[192:193], v[110:111], s[24:25]
	;; [unrolled: 1-line block ×5, first 2 shown]
	v_add_f64 v[120:121], v[166:167], v[120:121]
	v_add_f64 v[164:165], v[208:209], v[250:251]
	;; [unrolled: 1-line block ×10, first 2 shown]
	v_fma_f64 v[230:231], v[61:62], s[14:15], v[180:181]
	v_fma_f64 v[180:181], v[61:62], s[14:15], -v[180:181]
	v_fma_f64 v[158:159], v[61:62], s[22:23], v[182:183]
	v_fma_f64 v[182:183], v[61:62], s[22:23], -v[182:183]
	;; [unrolled: 2-line block ×3, first 2 shown]
	v_add_f64 v[142:143], v[48:49], v[142:143]
	v_fma_f64 v[92:93], v[61:62], s[10:11], v[186:187]
	v_fma_f64 v[186:187], v[61:62], s[10:11], -v[186:187]
	v_fma_f64 v[166:167], v[61:62], s[6:7], v[150:151]
	v_fma_f64 v[150:151], v[61:62], s[6:7], -v[150:151]
	;; [unrolled: 2-line block ×3, first 2 shown]
	v_add_f64 v[102:103], v[214:215], v[200:201]
	v_add_f64 v[144:145], v[172:173], v[144:145]
	;; [unrolled: 1-line block ×14, first 2 shown]
	v_mul_f64 v[202:203], v[124:125], s[36:37]
	v_add_f64 v[142:143], v[44:45], v[142:143]
	v_mul_f64 v[204:205], v[124:125], s[26:27]
	v_mul_f64 v[146:147], v[124:125], s[38:39]
	;; [unrolled: 1-line block ×5, first 2 shown]
	v_fma_f64 v[246:247], v[63:64], s[18:19], v[188:189]
	v_fma_f64 v[188:189], v[63:64], s[18:19], -v[188:189]
	v_fma_f64 v[222:223], v[63:64], s[10:11], v[190:191]
	v_fma_f64 v[190:191], v[63:64], s[10:11], -v[190:191]
	;; [unrolled: 2-line block ×6, first 2 shown]
	v_add_f64 v[102:103], v[230:231], v[102:103]
	v_add_f64 v[110:111], v[180:181], v[144:145]
	;; [unrolled: 1-line block ×12, first 2 shown]
	v_mul_f64 v[234:235], v[128:129], s[44:45]
	v_mul_f64 v[238:239], v[128:129], s[50:51]
	v_add_f64 v[96:97], v[138:139], v[96:97]
	v_add_f64 v[88:89], v[132:133], v[88:89]
	v_mul_f64 v[236:237], v[128:129], s[48:49]
	v_mul_f64 v[240:241], v[128:129], s[30:31]
	;; [unrolled: 1-line block ×6, first 2 shown]
	v_fma_f64 v[242:243], v[65:66], s[4:5], v[202:203]
	v_fma_f64 v[202:203], v[65:66], s[4:5], -v[202:203]
	v_fma_f64 v[162:163], v[65:66], s[10:11], v[204:205]
	v_fma_f64 v[204:205], v[65:66], s[10:11], -v[204:205]
	v_add_f64 v[90:91], v[20:21], v[90:91]
	v_fma_f64 v[164:165], v[65:66], s[22:23], v[146:147]
	v_fma_f64 v[92:93], v[65:66], s[22:23], -v[146:147]
	v_fma_f64 v[112:113], v[65:66], s[20:21], -v[248:249]
	v_fma_f64 v[126:127], v[65:66], s[16:17], v[252:253]
	v_fma_f64 v[130:131], v[65:66], s[16:17], -v[252:253]
	v_fma_f64 v[146:147], v[65:66], s[14:15], v[124:125]
	v_add_f64 v[94:95], v[190:191], v[94:95]
	v_add_f64 v[120:121], v[192:193], v[120:121]
	v_add_f64 v[84:85], v[222:223], v[84:85]
	v_add_f64 v[104:105], v[194:195], v[104:105]
	v_add_f64 v[56:57], v[62:63], v[56:57]
	v_add_f64 v[98:99], v[198:199], v[98:99]
	v_add_f64 v[24:25], v[170:171], v[24:25]
	v_add_f64 v[58:59], v[232:233], v[58:59]
	v_add_f64 v[116:117], v[116:117], -v[234:235]
	v_add_f64 v[106:107], v[106:107], -v[238:239]
	v_add_f64 v[96:97], v[136:137], v[96:97]
	v_add_f64 v[88:89], v[134:135], v[88:89]
	v_fma_f64 v[142:143], v[86:87], s[18:19], v[236:237]
	v_fma_f64 v[156:157], v[86:87], s[18:19], -v[236:237]
	v_fma_f64 v[114:115], v[86:87], s[14:15], v[240:241]
	v_add_f64 v[60:61], v[16:17], v[90:91]
	v_add_f64 v[90:91], v[168:169], v[108:109]
	v_fma_f64 v[108:109], v[65:66], s[20:21], v[248:249]
	v_fma_f64 v[64:65], v[65:66], s[14:15], -v[124:125]
	v_add_f64 v[66:67], v[246:247], v[102:103]
	v_add_f64 v[102:103], v[188:189], v[110:111]
	;; [unrolled: 1-line block ×3, first 2 shown]
	v_fma_f64 v[118:119], v[86:87], s[14:15], -v[240:241]
	v_fma_f64 v[122:123], v[86:87], s[4:5], v[152:153]
	v_fma_f64 v[124:125], v[86:87], s[10:11], v[244:245]
	v_fma_f64 v[132:133], v[86:87], s[10:11], -v[244:245]
	v_fma_f64 v[138:139], v[86:87], s[6:7], v[154:155]
	v_fma_f64 v[144:145], v[86:87], s[6:7], -v[154:155]
	v_fma_f64 v[148:149], v[86:87], s[16:17], v[128:129]
	v_add_f64 v[94:95], v[202:203], v[94:95]
	v_add_f64 v[120:121], v[204:205], v[120:121]
	;; [unrolled: 1-line block ×10, first 2 shown]
	v_fma_f64 v[90:91], v[86:87], s[4:5], -v[152:153]
	v_fma_f64 v[86:87], v[86:87], s[16:17], -v[128:129]
	v_add_f64 v[66:67], v[126:127], v[66:67]
	v_add_f64 v[102:103], v[130:131], v[102:103]
	;; [unrolled: 1-line block ×18, first 2 shown]
	v_mul_u32_u24_e32 v90, 0x88, v140
	v_add3_u32 v90, 0, v90, v141
	v_add_f64 v[60:61], v[4:5], v[60:61]
	v_add_f64 v[62:63], v[124:125], v[62:63]
	ds_write2_b64 v90, v[0:1], v[2:3] offset0:14 offset1:15
	ds_write2_b64 v90, v[88:89], v[96:97] offset0:2 offset1:3
	;; [unrolled: 1-line block ×7, first 2 shown]
	ds_write2_b64 v90, v[60:61], v[58:59] offset1:1
	ds_write_b64 v90, v[62:63] offset:128
.LBB0_12:
	s_or_b32 exec_lo, exec_lo, s1
	v_lshlrev_b32_e32 v24, 3, v140
	s_waitcnt lgkmcnt(0)
	s_barrier
	buffer_gl0_inv
	v_cmp_gt_u32_e64 s1, 17, v140
	v_add_nc_u32_e32 v144, 0, v24
	v_add3_u32 v142, 0, v141, v24
	v_add_nc_u32_e32 v143, v144, v141
	v_add_nc_u32_e32 v24, 0x400, v143
	;; [unrolled: 1-line block ×3, first 2 shown]
	ds_read2_b64 v[84:87], v143 offset0:34 offset1:68
	ds_read2_b64 v[88:91], v143 offset0:102 offset1:136
	;; [unrolled: 1-line block ×6, first 2 shown]
	ds_read_b64 v[104:105], v142
	ds_read_b64 v[102:103], v143 offset:3672
	s_and_saveexec_b32 s4, s1
	s_cbranch_execz .LBB0_14
; %bb.13:
	v_add_nc_u32_e32 v0, 0x770, v143
	ds_read2_b64 v[0:3], v0 offset1:255
.LBB0_14:
	s_or_b32 exec_lo, exec_lo, s4
	v_add_f64 v[118:119], v[36:37], -v[4:5]
	s_mov_b32 s44, 0x7c9e640b
	s_mov_b32 s45, 0xbfeca52d
	v_add_f64 v[116:117], v[6:7], v[38:39]
	v_add_f64 v[138:139], v[32:33], -v[8:9]
	s_mov_b32 s6, 0x75d4884
	s_mov_b32 s4, 0x2b2883cd
	s_mov_b32 s28, 0x6c9a05f6
	s_mov_b32 s7, 0x3fe7a5f6
	s_mov_b32 s5, 0x3fdc86fa
	s_mov_b32 s23, 0xbfefdd0d
	s_mov_b32 s22, 0xeb564b22
	s_mov_b32 s29, 0xbfe9895b
	v_add_f64 v[120:121], v[10:11], v[34:35]
	v_add_f64 v[136:137], v[28:29], -v[12:13]
	s_mov_b32 s10, 0x3259b75e
	s_mov_b32 s11, 0x3fb79ee6
	;; [unrolled: 1-line block ×4, first 2 shown]
	v_add_f64 v[114:115], v[14:15], v[30:31]
	v_add_f64 v[126:127], v[76:77], -v[16:17]
	s_mov_b32 s18, 0x7faef3
	v_mul_f64 v[128:129], v[118:119], s[24:25]
	v_mul_f64 v[130:131], v[118:119], s[44:45]
	s_mov_b32 s46, 0x923c349f
	s_mov_b32 s19, 0xbfef7484
	v_mul_f64 v[132:133], v[138:139], s[22:23]
	v_mul_f64 v[134:135], v[138:139], s[28:29]
	s_mov_b32 s47, 0x3feec746
	v_add_f64 v[76:77], v[18:19], v[78:79]
	v_add_f64 v[68:69], v[68:69], -v[20:21]
	s_mov_b32 s48, 0x4363dd80
	s_mov_b32 s49, 0x3fe0d888
	;; [unrolled: 1-line block ×4, first 2 shown]
	v_add_f64 v[36:37], v[22:23], v[70:71]
	v_mul_f64 v[124:125], v[136:137], s[28:29]
	v_mul_f64 v[122:123], v[136:137], s[30:31]
	s_mov_b32 s31, 0xbfc7851a
	v_add_f64 v[24:25], v[80:81], -v[40:41]
	s_mov_b32 s36, 0x5d8e7cdc
	s_mov_b32 s37, 0xbfd71e95
	v_mul_f64 v[106:107], v[126:127], s[46:47]
	v_mul_f64 v[108:109], v[126:127], s[30:31]
	v_fma_f64 v[4:5], v[116:117], s[6:7], -v[128:129]
	v_fma_f64 v[8:9], v[116:117], s[4:5], -v[130:131]
	s_mov_b32 s26, 0x370991
	s_mov_b32 s27, 0x3fedd6d0
	v_fma_f64 v[12:13], v[120:121], s[10:11], -v[132:133]
	v_fma_f64 v[16:17], v[120:121], s[14:15], -v[134:135]
	s_mov_b32 s39, 0x3feca52d
	s_mov_b32 s38, s44
	v_mul_f64 v[110:111], v[68:69], s[48:49]
	v_mul_f64 v[80:81], v[68:69], s[34:35]
	v_add_f64 v[32:33], v[52:53], -v[48:49]
	s_mov_b32 s41, 0xbfe0d888
	s_mov_b32 s50, s36
	;; [unrolled: 1-line block ×3, first 2 shown]
	v_fma_f64 v[20:21], v[114:115], s[14:15], -v[124:125]
	v_fma_f64 v[28:29], v[114:115], s[18:19], -v[122:123]
	s_waitcnt lgkmcnt(0)
	v_mul_f64 v[112:113], v[24:25], s[46:47]
	s_barrier
	buffer_gl0_inv
	v_add_f64 v[4:5], v[26:27], v[4:5]
	v_add_f64 v[8:9], v[26:27], v[8:9]
	v_fma_f64 v[40:41], v[36:37], s[20:21], -v[110:111]
	v_add_f64 v[4:5], v[12:13], v[4:5]
	v_add_f64 v[8:9], v[16:17], v[8:9]
	v_fma_f64 v[12:13], v[76:77], s[16:17], -v[106:107]
	v_fma_f64 v[16:17], v[76:77], s[18:19], -v[108:109]
	v_add_f64 v[4:5], v[20:21], v[4:5]
	v_add_f64 v[20:21], v[28:29], v[8:9]
	;; [unrolled: 1-line block ×3, first 2 shown]
	v_add_f64 v[28:29], v[72:73], -v[44:45]
	v_mul_f64 v[72:73], v[24:25], s[36:37]
	v_fma_f64 v[44:45], v[36:37], s[6:7], -v[80:81]
	v_add_f64 v[4:5], v[16:17], v[4:5]
	v_add_f64 v[16:17], v[12:13], v[20:21]
	;; [unrolled: 1-line block ×3, first 2 shown]
	v_mul_f64 v[52:53], v[28:29], s[38:39]
	v_mul_f64 v[48:49], v[28:29], s[22:23]
	v_fma_f64 v[96:97], v[8:9], s[16:17], -v[112:113]
	v_fma_f64 v[98:99], v[8:9], s[26:27], -v[72:73]
	v_mul_f64 v[20:21], v[32:33], s[40:41]
	v_add_f64 v[40:41], v[40:41], v[4:5]
	v_add_f64 v[44:45], v[44:45], v[16:17]
	;; [unrolled: 1-line block ×3, first 2 shown]
	v_mul_f64 v[16:17], v[32:33], s[50:51]
	v_fma_f64 v[145:146], v[12:13], s[4:5], -v[52:53]
	v_fma_f64 v[147:148], v[12:13], s[10:11], -v[48:49]
	v_add_f64 v[40:41], v[96:97], v[40:41]
	v_add_f64 v[44:45], v[98:99], v[44:45]
	v_fma_f64 v[149:150], v[4:5], s[20:21], -v[20:21]
	v_fma_f64 v[96:97], v[4:5], s[26:27], -v[16:17]
	v_add_f64 v[40:41], v[145:146], v[40:41]
	v_add_f64 v[44:45], v[147:148], v[44:45]
	;; [unrolled: 1-line block ×4, first 2 shown]
	s_and_saveexec_b32 s33, s0
	s_cbranch_execz .LBB0_16
; %bb.15:
	v_add_f64 v[38:39], v[38:39], v[26:27]
	s_mov_b32 s43, 0xbfeec746
	s_mov_b32 s42, s46
	v_mul_f64 v[40:41], v[120:121], s[10:11]
	v_mul_f64 v[44:45], v[120:121], s[14:15]
	v_mul_f64 v[157:158], v[118:119], s[36:37]
	v_mul_f64 v[159:160], v[118:119], s[22:23]
	v_mul_f64 v[161:162], v[118:119], s[28:29]
	v_mul_f64 v[163:164], v[118:119], s[40:41]
	v_mul_f64 v[171:172], v[138:139], s[46:47]
	v_mul_f64 v[177:178], v[136:137], s[46:47]
	s_mov_b32 s47, 0x3fe9895b
	s_mov_b32 s46, s28
	v_mul_f64 v[145:146], v[36:37], s[20:21]
	v_mul_f64 v[147:148], v[36:37], s[6:7]
	;; [unrolled: 1-line block ×9, first 2 shown]
	v_add_f64 v[34:35], v[34:35], v[38:39]
	v_mul_f64 v[38:39], v[116:117], s[4:5]
	v_mul_f64 v[173:174], v[138:139], s[38:39]
	v_mul_f64 v[138:139], v[138:139], s[50:51]
	v_mul_f64 v[175:176], v[136:137], s[44:45]
	v_mul_f64 v[179:180], v[136:137], s[34:35]
	v_mul_f64 v[181:182], v[136:137], s[36:37]
	v_mul_f64 v[183:184], v[136:137], s[22:23]
	v_mul_f64 v[136:137], v[136:137], s[40:41]
	v_mul_f64 v[185:186], v[126:127], s[22:23]
	v_mul_f64 v[187:188], v[126:127], s[50:51]
	v_mul_f64 v[189:190], v[126:127], s[44:45]
	v_mul_f64 v[191:192], v[126:127], s[40:41]
	v_fma_f64 v[193:194], v[116:117], s[26:27], v[157:158]
	v_add_f64 v[132:133], v[40:41], v[132:133]
	v_add_f64 v[134:135], v[44:45], v[134:135]
	s_mov_b32 s23, 0x3fefdd0d
	v_fma_f64 v[203:204], v[120:121], s[16:17], v[171:172]
	v_fma_f64 v[171:172], v[120:121], s[16:17], -v[171:172]
	v_fma_f64 v[197:198], v[120:121], s[6:7], v[165:166]
	v_fma_f64 v[165:166], v[120:121], s[6:7], -v[165:166]
	v_fma_f64 v[199:200], v[120:121], s[18:19], v[167:168]
	v_add_f64 v[30:31], v[30:31], v[34:35]
	v_mul_f64 v[34:35], v[116:117], s[6:7]
	v_add_f64 v[38:39], v[38:39], v[130:131]
	v_fma_f64 v[130:131], v[116:117], s[10:11], -v[159:160]
	v_fma_f64 v[167:168], v[120:121], s[18:19], -v[167:168]
	v_fma_f64 v[201:202], v[120:121], s[20:21], v[169:170]
	v_fma_f64 v[169:170], v[120:121], s[20:21], -v[169:170]
	v_fma_f64 v[205:206], v[120:121], s[4:5], v[173:174]
	;; [unrolled: 2-line block ×4, first 2 shown]
	v_fma_f64 v[183:184], v[114:115], s[10:11], -v[183:184]
	v_add_f64 v[138:139], v[26:27], v[193:194]
	v_fma_f64 v[213:214], v[114:115], s[20:21], v[136:137]
	v_add_f64 v[110:111], v[145:146], v[110:111]
	v_fma_f64 v[145:146], v[76:77], s[10:11], v[185:186]
	v_fma_f64 v[185:186], v[76:77], s[10:11], -v[185:186]
	v_add_f64 v[80:81], v[147:148], v[80:81]
	v_fma_f64 v[147:148], v[76:77], s[26:27], v[187:188]
	v_fma_f64 v[187:188], v[76:77], s[26:27], -v[187:188]
	v_add_f64 v[30:31], v[78:79], v[30:31]
	v_mul_f64 v[78:79], v[76:77], s[18:19]
	v_add_f64 v[34:35], v[34:35], v[128:129]
	v_fma_f64 v[128:129], v[116:117], s[10:11], v[159:160]
	v_fma_f64 v[159:160], v[116:117], s[14:15], -v[161:162]
	v_add_f64 v[130:131], v[26:27], v[130:131]
	v_add_f64 v[30:31], v[70:71], v[30:31]
	v_mul_f64 v[70:71], v[114:115], s[14:15]
	v_add_f64 v[78:79], v[78:79], v[108:109]
	v_add_f64 v[128:129], v[26:27], v[128:129]
	;; [unrolled: 1-line block ×3, first 2 shown]
	v_mul_f64 v[108:109], v[68:69], s[30:31]
	v_add_f64 v[130:131], v[167:168], v[130:131]
	v_mul_f64 v[167:168], v[24:25], s[28:29]
	v_add_f64 v[30:31], v[82:83], v[30:31]
	;; [unrolled: 2-line block ×3, first 2 shown]
	v_fma_f64 v[124:125], v[114:115], s[4:5], v[175:176]
	v_add_f64 v[128:129], v[199:200], v[128:129]
	v_add_f64 v[159:160], v[171:172], v[159:160]
	v_mul_f64 v[171:172], v[24:25], s[40:41]
	v_fma_f64 v[199:200], v[8:9], s[14:15], v[167:168]
	v_fma_f64 v[167:168], v[8:9], s[14:15], -v[167:168]
	v_add_f64 v[30:31], v[74:75], v[30:31]
	v_mul_f64 v[74:75], v[114:115], s[18:19]
	v_add_f64 v[82:83], v[82:83], v[106:107]
	v_mul_f64 v[106:107], v[68:69], s[36:37]
	v_add_f64 v[30:31], v[54:55], v[30:31]
	v_mul_f64 v[54:55], v[118:119], s[30:31]
	v_mul_f64 v[118:119], v[118:119], s[42:43]
	v_add_f64 v[74:75], v[74:75], v[122:123]
	v_fma_f64 v[122:123], v[114:115], s[16:17], v[177:178]
	v_add_f64 v[30:31], v[50:51], v[30:31]
	v_fma_f64 v[50:51], v[116:117], s[26:27], -v[157:158]
	v_fma_f64 v[157:158], v[116:117], s[14:15], v[161:162]
	v_fma_f64 v[161:162], v[116:117], s[20:21], v[163:164]
	v_fma_f64 v[163:164], v[116:117], s[20:21], -v[163:164]
	v_fma_f64 v[195:196], v[116:117], s[18:19], v[54:55]
	v_fma_f64 v[54:55], v[116:117], s[18:19], -v[54:55]
	;; [unrolled: 2-line block ×3, first 2 shown]
	v_mul_f64 v[116:117], v[126:127], s[34:35]
	v_mul_f64 v[118:119], v[126:127], s[46:47]
	v_fma_f64 v[126:127], v[114:115], s[16:17], -v[177:178]
	v_add_f64 v[177:178], v[26:27], v[38:39]
	v_add_f64 v[38:39], v[155:156], v[48:49]
	;; [unrolled: 1-line block ×3, first 2 shown]
	v_mul_f64 v[128:129], v[32:33], s[30:31]
	v_add_f64 v[46:47], v[46:47], v[30:31]
	v_fma_f64 v[30:31], v[114:115], s[4:5], -v[175:176]
	v_add_f64 v[50:51], v[26:27], v[50:51]
	v_add_f64 v[175:176], v[26:27], v[34:35]
	;; [unrolled: 1-line block ×9, first 2 shown]
	v_fma_f64 v[44:45], v[114:115], s[6:7], v[179:180]
	v_fma_f64 v[40:41], v[114:115], s[6:7], -v[179:180]
	v_fma_f64 v[179:180], v[114:115], s[26:27], v[181:182]
	v_fma_f64 v[181:182], v[114:115], s[26:27], -v[181:182]
	v_fma_f64 v[114:115], v[114:115], s[20:21], -v[136:137]
	v_mul_f64 v[136:137], v[68:69], s[44:45]
	v_add_f64 v[34:35], v[153:154], v[52:53]
	v_fma_f64 v[52:53], v[76:77], s[6:7], v[116:117]
	v_fma_f64 v[116:117], v[76:77], s[6:7], -v[116:117]
	v_fma_f64 v[48:49], v[76:77], s[14:15], v[118:119]
	v_mul_f64 v[153:154], v[68:69], s[42:43]
	v_add_f64 v[26:27], v[42:43], v[46:47]
	v_add_f64 v[42:43], v[149:150], v[112:113]
	v_fma_f64 v[112:113], v[76:77], s[4:5], v[189:190]
	v_fma_f64 v[149:150], v[76:77], s[4:5], -v[189:190]
	v_add_f64 v[46:47], v[151:152], v[72:73]
	v_fma_f64 v[72:73], v[76:77], s[20:21], v[191:192]
	v_fma_f64 v[151:152], v[76:77], s[20:21], -v[191:192]
	v_fma_f64 v[76:77], v[76:77], s[14:15], -v[118:119]
	v_mul_f64 v[118:119], v[68:69], s[28:29]
	v_mul_f64 v[68:69], v[68:69], s[22:23]
	v_fma_f64 v[189:190], v[36:37], s[18:19], v[108:109]
	v_fma_f64 v[108:109], v[36:37], s[18:19], -v[108:109]
	v_fma_f64 v[191:192], v[36:37], s[26:27], v[106:107]
	v_fma_f64 v[106:107], v[36:37], s[26:27], -v[106:107]
	v_add_f64 v[132:133], v[132:133], v[175:176]
	v_add_f64 v[134:135], v[134:135], v[177:178]
	v_fma_f64 v[155:156], v[36:37], s[4:5], v[136:137]
	v_fma_f64 v[136:137], v[36:37], s[4:5], -v[136:137]
	v_add_f64 v[161:162], v[205:206], v[161:162]
	v_add_f64 v[163:164], v[173:174], v[163:164]
	;; [unrolled: 1-line block ×3, first 2 shown]
	v_fma_f64 v[217:218], v[36:37], s[16:17], v[153:154]
	v_fma_f64 v[153:154], v[36:37], s[16:17], -v[153:154]
	v_add_f64 v[54:55], v[120:121], v[54:55]
	v_add_f64 v[177:178], v[201:202], v[195:196]
	;; [unrolled: 1-line block ×6, first 2 shown]
	v_mul_f64 v[175:176], v[24:25], s[24:25]
	v_fma_f64 v[215:216], v[36:37], s[14:15], v[118:119]
	v_fma_f64 v[118:119], v[36:37], s[14:15], -v[118:119]
	v_fma_f64 v[219:220], v[36:37], s[10:11], v[68:69]
	v_fma_f64 v[36:37], v[36:37], s[10:11], -v[68:69]
	v_add_f64 v[68:69], v[197:198], v[138:139]
	v_add_f64 v[138:139], v[203:204], v[157:158]
	;; [unrolled: 1-line block ×4, first 2 shown]
	v_mul_f64 v[120:121], v[24:25], s[30:31]
	v_mul_f64 v[193:194], v[24:25], s[38:39]
	v_add_f64 v[161:162], v[211:212], v[161:162]
	v_add_f64 v[163:164], v[183:184], v[163:164]
	v_add_f64 v[173:174], v[213:214], v[173:174]
	v_mul_f64 v[24:25], v[24:25], s[22:23]
	v_add_f64 v[122:123], v[147:148], v[122:123]
	v_add_f64 v[54:55], v[114:115], v[54:55]
	;; [unrolled: 1-line block ×7, first 2 shown]
	v_mul_f64 v[195:196], v[28:29], s[40:41]
	v_mul_f64 v[132:133], v[28:29], s[30:31]
	;; [unrolled: 1-line block ×4, first 2 shown]
	v_fma_f64 v[114:115], v[8:9], s[20:21], v[171:172]
	v_add_f64 v[68:69], v[124:125], v[68:69]
	v_add_f64 v[138:139], v[179:180], v[138:139]
	;; [unrolled: 1-line block ×4, first 2 shown]
	v_mul_f64 v[124:125], v[28:29], s[36:37]
	v_mul_f64 v[28:29], v[28:29], s[42:43]
	v_add_f64 v[48:49], v[48:49], v[161:162]
	v_add_f64 v[76:77], v[76:77], v[163:164]
	;; [unrolled: 1-line block ×3, first 2 shown]
	v_fma_f64 v[171:172], v[8:9], s[20:21], -v[171:172]
	v_fma_f64 v[50:51], v[8:9], s[6:7], v[175:176]
	v_add_f64 v[54:55], v[116:117], v[54:55]
	v_add_f64 v[44:45], v[112:113], v[44:45]
	;; [unrolled: 1-line block ×4, first 2 shown]
	v_fma_f64 v[175:176], v[8:9], s[6:7], -v[175:176]
	v_fma_f64 v[177:178], v[8:9], s[18:19], v[120:121]
	v_fma_f64 v[120:121], v[8:9], s[18:19], -v[120:121]
	v_fma_f64 v[169:170], v[8:9], s[4:5], v[193:194]
	;; [unrolled: 2-line block ×3, first 2 shown]
	v_fma_f64 v[116:117], v[4:5], s[18:19], -v[128:129]
	v_add_f64 v[68:69], v[145:146], v[68:69]
	v_add_f64 v[72:73], v[72:73], v[138:139]
	;; [unrolled: 1-line block ×3, first 2 shown]
	v_fma_f64 v[128:129], v[8:9], s[10:11], v[24:25]
	v_fma_f64 v[8:9], v[8:9], s[10:11], -v[24:25]
	v_add_f64 v[18:19], v[18:19], v[22:23]
	v_add_f64 v[48:49], v[191:192], v[48:49]
	;; [unrolled: 1-line block ×4, first 2 shown]
	v_mul_f64 v[157:158], v[4:5], s[26:27]
	v_mul_f64 v[165:166], v[4:5], s[20:21]
	v_add_f64 v[54:55], v[118:119], v[54:55]
	v_add_f64 v[44:45], v[189:190], v[44:45]
	;; [unrolled: 1-line block ×4, first 2 shown]
	v_mul_f64 v[130:131], v[32:33], s[34:35]
	v_mul_f64 v[179:180], v[32:33], s[28:29]
	;; [unrolled: 1-line block ×5, first 2 shown]
	v_fma_f64 v[145:146], v[12:13], s[20:21], v[195:196]
	v_fma_f64 v[195:196], v[12:13], s[20:21], -v[195:196]
	v_add_f64 v[24:25], v[217:218], v[68:69]
	v_add_f64 v[68:69], v[110:111], v[70:71]
	;; [unrolled: 1-line block ×7, first 2 shown]
	v_fma_f64 v[78:79], v[12:13], s[26:27], v[124:125]
	v_fma_f64 v[124:125], v[12:13], s[26:27], -v[124:125]
	v_fma_f64 v[82:83], v[12:13], s[18:19], v[132:133]
	v_fma_f64 v[132:133], v[12:13], s[18:19], -v[132:133]
	;; [unrolled: 2-line block ×5, first 2 shown]
	v_add_f64 v[48:49], v[177:178], v[48:49]
	v_add_f64 v[52:53], v[169:170], v[52:53]
	;; [unrolled: 1-line block ×17, first 2 shown]
	v_fma_f64 v[26:27], v[4:5], s[6:7], v[130:131]
	v_fma_f64 v[106:107], v[4:5], s[6:7], -v[130:131]
	v_fma_f64 v[108:109], v[4:5], s[14:15], v[179:180]
	v_fma_f64 v[22:23], v[4:5], s[14:15], -v[179:180]
	;; [unrolled: 2-line block ×5, first 2 shown]
	v_add_f64 v[24:25], v[145:146], v[24:25]
	v_add_f64 v[28:29], v[34:35], v[28:29]
	;; [unrolled: 1-line block ×30, first 2 shown]
	v_lshlrev_b32_e32 v14, 7, v140
	v_add3_u32 v14, v144, v14, v141
	ds_write2_b64 v14, v[96:97], v[98:99] offset0:14 offset1:15
	ds_write2_b64 v14, v[16:17], v[20:21] offset0:2 offset1:3
	;; [unrolled: 1-line block ×7, first 2 shown]
	ds_write2_b64 v14, v[6:7], v[18:19] offset1:1
	ds_write_b64 v14, v[10:11] offset:128
.LBB0_16:
	s_or_b32 exec_lo, exec_lo, s33
	v_add_nc_u32_e32 v4, 0x400, v143
	v_add_nc_u32_e32 v20, 0x800, v143
	s_waitcnt lgkmcnt(0)
	s_barrier
	buffer_gl0_inv
	ds_read2_b64 v[4:7], v4 offset0:127 offset1:161
	ds_read2_b64 v[12:15], v143 offset0:34 offset1:68
	;; [unrolled: 1-line block ×6, first 2 shown]
	ds_read_b64 v[72:73], v142
	ds_read_b64 v[74:75], v143 offset:3672
	s_and_saveexec_b32 s0, s1
	s_cbranch_execz .LBB0_18
; %bb.17:
	v_add_nc_u32_e32 v28, 0x770, v143
	ds_read2_b64 v[96:99], v28 offset1:255
.LBB0_18:
	s_or_b32 exec_lo, exec_lo, s0
	v_add_nc_u32_e32 v106, 34, v140
	v_add_nc_u32_e32 v107, 0x44, v140
	;; [unrolled: 1-line block ×3, first 2 shown]
	v_add_nc_u16 v76, v140, 0x88
	v_add_nc_u16 v33, v140, 0xaa
	v_and_b32_e32 v29, 0xff, v106
	v_add_nc_u32_e32 v109, 0xcc, v140
	v_and_b32_e32 v30, 0xff, v107
	v_and_b32_e32 v31, 0xff, v108
	v_subrev_nc_u32_e32 v28, 17, v140
	v_mul_lo_u16 v29, 0xf1, v29
	v_and_b32_e32 v34, 0xff, v76
	v_and_b32_e32 v35, 0xff, v33
	;; [unrolled: 1-line block ×3, first 2 shown]
	v_mul_lo_u16 v79, 0xf1, v30
	v_lshrrev_b16 v126, 12, v29
	v_mul_lo_u16 v78, 0xf1, v31
	v_mov_b32_e32 v82, 0
	v_cndmask_b32_e64 v81, v28, v140, s1
	v_mul_lo_u16 v77, 0xf1, v34
	v_mul_lo_u16 v34, 0xf1, v35
	v_mul_lo_u16 v35, 0xf1, v36
	v_lshrrev_b16 v127, 12, v79
	v_mul_lo_u16 v30, v126, 17
	v_lshrrev_b16 v128, 12, v78
	v_lshlrev_b64 v[28:29], 4, v[81:82]
	v_lshrrev_b16 v129, 12, v77
	v_lshrrev_b16 v131, 12, v34
	;; [unrolled: 1-line block ×3, first 2 shown]
	v_mul_lo_u16 v34, v127, 17
	v_mov_b32_e32 v32, 4
	v_sub_nc_u16 v130, v106, v30
	v_mul_lo_u16 v35, v128, 17
	v_mul_lo_u16 v40, v129, 17
	v_add_co_u32 v28, s0, s8, v28
	v_mul_lo_u16 v41, v131, 17
	v_mul_lo_u16 v42, v132, 17
	v_add_co_ci_u32_e64 v29, s0, s9, v29, s0
	v_sub_nc_u16 v133, v107, v34
	v_lshlrev_b32_sdwa v36, v32, v130 dst_sel:DWORD dst_unused:UNUSED_PAD src0_sel:DWORD src1_sel:BYTE_0
	v_sub_nc_u16 v134, v108, v35
	v_sub_nc_u16 v135, v76, v40
	;; [unrolled: 1-line block ×4, first 2 shown]
	s_clause 0x1
	global_load_dwordx4 v[28:31], v[28:29], off
	global_load_dwordx4 v[36:39], v36, s[8:9]
	v_lshlrev_b32_sdwa v33, v32, v133 dst_sel:DWORD dst_unused:UNUSED_PAD src0_sel:DWORD src1_sel:BYTE_0
	v_lshlrev_b32_sdwa v34, v32, v134 dst_sel:DWORD dst_unused:UNUSED_PAD src0_sel:DWORD src1_sel:BYTE_0
	;; [unrolled: 1-line block ×5, first 2 shown]
	s_clause 0x4
	global_load_dwordx4 v[40:43], v33, s[8:9]
	global_load_dwordx4 v[44:47], v34, s[8:9]
	;; [unrolled: 1-line block ×5, first 2 shown]
	v_add_nc_u32_e32 v33, 0xee, v140
	v_mov_b32_e32 v34, 0xf0f1
	v_cmp_lt_u32_e64 s0, 16, v140
	v_lshlrev_b32_e32 v81, 3, v81
	v_mul_u32_u24_sdwa v34, v33, v34 dst_sel:DWORD dst_unused:UNUSED_PAD src0_sel:WORD_0 src1_sel:DWORD
	v_cndmask_b32_e64 v122, 0, 0x110, s0
	v_lshrrev_b32_e32 v34, 20, v34
	v_add_nc_u32_e32 v138, 0, v122
	v_mul_lo_u16 v34, v34, 17
	v_add3_u32 v81, v138, v81, v141
	v_sub_nc_u16 v80, v33, v34
	v_lshlrev_b32_sdwa v32, v32, v80 dst_sel:DWORD dst_unused:UNUSED_PAD src0_sel:DWORD src1_sel:WORD_0
	global_load_dwordx4 v[32:35], v32, s[8:9]
	s_waitcnt vmcnt(0) lgkmcnt(0)
	s_barrier
	buffer_gl0_inv
	v_mul_f64 v[82:83], v[4:5], v[30:31]
	v_mul_f64 v[110:111], v[6:7], v[38:39]
	;; [unrolled: 1-line block ×7, first 2 shown]
	v_fma_f64 v[82:83], v[64:65], v[28:29], -v[82:83]
	v_fma_f64 v[110:111], v[66:67], v[36:37], -v[110:111]
	;; [unrolled: 1-line block ×7, first 2 shown]
	v_add_f64 v[122:123], v[104:105], -v[82:83]
	v_add_f64 v[124:125], v[84:85], -v[110:111]
	v_and_b32_e32 v82, 0xffff, v126
	v_add_f64 v[111:112], v[86:87], -v[112:113]
	v_add_f64 v[113:114], v[88:89], -v[114:115]
	;; [unrolled: 1-line block ×5, first 2 shown]
	v_and_b32_e32 v83, 0xffff, v127
	v_and_b32_e32 v126, 0xffff, v129
	;; [unrolled: 1-line block ×5, first 2 shown]
	v_mov_b32_e32 v110, 3
	v_mad_u32_u24 v131, 0x110, v126, 0
	v_mad_u32_u24 v132, 0x110, v127, 0
	;; [unrolled: 1-line block ×6, first 2 shown]
	v_fma_f64 v[104:105], v[104:105], 2.0, -v[122:123]
	v_fma_f64 v[126:127], v[84:85], 2.0, -v[124:125]
	v_lshlrev_b32_sdwa v84, v110, v130 dst_sel:DWORD dst_unused:UNUSED_PAD src0_sel:DWORD src1_sel:BYTE_0
	v_fma_f64 v[128:129], v[86:87], 2.0, -v[111:112]
	v_fma_f64 v[88:89], v[88:89], 2.0, -v[113:114]
	;; [unrolled: 1-line block ×5, first 2 shown]
	v_lshlrev_b32_sdwa v85, v110, v133 dst_sel:DWORD dst_unused:UNUSED_PAD src0_sel:DWORD src1_sel:BYTE_0
	v_lshlrev_b32_sdwa v86, v110, v134 dst_sel:DWORD dst_unused:UNUSED_PAD src0_sel:DWORD src1_sel:BYTE_0
	;; [unrolled: 1-line block ×5, first 2 shown]
	v_add3_u32 v82, v82, v84, v141
	v_add3_u32 v83, v83, v85, v141
	;; [unrolled: 1-line block ×6, first 2 shown]
	ds_write2_b64 v81, v[104:105], v[122:123] offset1:17
	ds_write2_b64 v82, v[126:127], v[124:125] offset1:17
	ds_write2_b64 v83, v[128:129], v[111:112] offset1:17
	ds_write2_b64 v84, v[88:89], v[113:114] offset1:17
	ds_write2_b64 v85, v[90:91], v[115:116] offset1:17
	ds_write2_b64 v86, v[92:93], v[117:118] offset1:17
	ds_write2_b64 v87, v[94:95], v[119:120] offset1:17
	s_and_saveexec_b32 s0, s1
	s_cbranch_execz .LBB0_20
; %bb.19:
	v_mul_f64 v[88:89], v[98:99], v[34:35]
	v_lshlrev_b32_sdwa v90, v110, v80 dst_sel:DWORD dst_unused:UNUSED_PAD src0_sel:DWORD src1_sel:WORD_0
	v_add3_u32 v90, 0, v90, v141
	v_add_nc_u32_e32 v90, 0x800, v90
	v_fma_f64 v[88:89], v[2:3], v[32:33], -v[88:89]
	v_add_f64 v[88:89], v[0:1], -v[88:89]
	v_fma_f64 v[0:1], v[0:1], 2.0, -v[88:89]
	ds_write2_b64 v90, v[0:1], v[88:89] offset0:220 offset1:237
.LBB0_20:
	s_or_b32 exec_lo, exec_lo, s0
	v_mul_f64 v[0:1], v[64:65], v[30:31]
	v_mul_f64 v[30:31], v[66:67], v[38:39]
	;; [unrolled: 1-line block ×7, first 2 shown]
	s_waitcnt lgkmcnt(0)
	s_barrier
	buffer_gl0_inv
	v_fma_f64 v[0:1], v[4:5], v[28:29], v[0:1]
	v_fma_f64 v[4:5], v[6:7], v[36:37], v[30:31]
	;; [unrolled: 1-line block ×7, first 2 shown]
	v_add_nc_u32_e32 v36, 0x800, v143
	v_add_nc_u32_e32 v37, 0x400, v143
	v_add_f64 v[38:39], v[72:73], -v[0:1]
	v_add_f64 v[40:41], v[12:13], -v[4:5]
	;; [unrolled: 1-line block ×7, first 2 shown]
	ds_read_b64 v[0:1], v142
	ds_read2_b64 v[28:31], v143 offset0:170 offset1:204
	ds_read2_b64 v[4:7], v143 offset0:34 offset1:68
	;; [unrolled: 1-line block ×4, first 2 shown]
	v_fma_f64 v[52:53], v[72:73], 2.0, -v[38:39]
	v_fma_f64 v[54:55], v[12:13], 2.0, -v[40:41]
	;; [unrolled: 1-line block ×7, first 2 shown]
	ds_read2_b64 v[20:23], v36 offset0:118 offset1:152
	ds_read2_b64 v[16:19], v37 offset0:110 offset1:144
	ds_read2_b64 v[12:15], v36 offset0:186 offset1:220
	s_waitcnt lgkmcnt(0)
	s_barrier
	buffer_gl0_inv
	ds_write2_b64 v81, v[52:53], v[38:39] offset1:17
	ds_write2_b64 v82, v[54:55], v[40:41] offset1:17
	;; [unrolled: 1-line block ×7, first 2 shown]
	s_and_saveexec_b32 s0, s1
	s_cbranch_execz .LBB0_22
; %bb.21:
	v_mul_f64 v[2:3], v[2:3], v[34:35]
	v_mov_b32_e32 v34, 3
	v_lshlrev_b32_sdwa v34, v34, v80 dst_sel:DWORD dst_unused:UNUSED_PAD src0_sel:DWORD src1_sel:WORD_0
	v_add3_u32 v34, 0, v34, v141
	v_add_nc_u32_e32 v34, 0x800, v34
	v_fma_f64 v[2:3], v[98:99], v[32:33], v[2:3]
	v_add_f64 v[2:3], v[96:97], -v[2:3]
	v_fma_f64 v[32:33], v[96:97], 2.0, -v[2:3]
	ds_write2_b64 v34, v[32:33], v[2:3] offset0:220 offset1:237
.LBB0_22:
	s_or_b32 exec_lo, exec_lo, s0
	v_lshlrev_b32_e32 v32, 1, v140
	v_mov_b32_e32 v33, 0
	v_lshrrev_b16 v34, 13, v79
	v_lshrrev_b16 v35, 13, v77
	v_mov_b32_e32 v46, 5
	s_waitcnt lgkmcnt(0)
	v_lshlrev_b64 v[2:3], 4, v[32:33]
	v_lshrrev_b16 v32, 13, v78
	v_mul_lo_u16 v34, v34, 34
	v_mul_lo_u16 v35, v35, 34
	s_barrier
	buffer_gl0_inv
	v_add_co_u32 v2, s0, s8, v2
	v_mul_lo_u16 v32, v32, 34
	v_add_co_ci_u32_e64 v3, s0, s9, v3, s0
	v_sub_nc_u16 v34, v107, v34
	v_sub_nc_u16 v35, v76, v35
	;; [unrolled: 1-line block ×3, first 2 shown]
	s_clause 0x1
	global_load_dwordx4 v[38:41], v[2:3], off offset:272
	global_load_dwordx4 v[42:45], v[2:3], off offset:288
	v_lshlrev_b32_sdwa v2, v46, v34 dst_sel:DWORD dst_unused:UNUSED_PAD src0_sel:DWORD src1_sel:BYTE_0
	v_lshlrev_b32_sdwa v66, v46, v35 dst_sel:DWORD dst_unused:UNUSED_PAD src0_sel:DWORD src1_sel:BYTE_0
	;; [unrolled: 1-line block ×3, first 2 shown]
	s_clause 0x5
	global_load_dwordx4 v[46:49], v2, s[8:9] offset:272
	global_load_dwordx4 v[50:53], v2, s[8:9] offset:288
	;; [unrolled: 1-line block ×6, first 2 shown]
	ds_read2_b64 v[70:73], v143 offset0:170 offset1:204
	ds_read2_b64 v[74:77], v36 offset0:50 offset1:84
	ds_read_b64 v[2:3], v142
	ds_read2_b64 v[78:81], v143 offset0:34 offset1:68
	ds_read2_b64 v[82:85], v36 offset0:118 offset1:152
	;; [unrolled: 1-line block ×5, first 2 shown]
	v_mov_b32_e32 v98, 3
	s_mov_b32 s0, 0xe8584caa
	s_mov_b32 s1, 0x3febb67a
	;; [unrolled: 1-line block ×4, first 2 shown]
	v_lshlrev_b32_sdwa v126, v98, v34 dst_sel:DWORD dst_unused:UNUSED_PAD src0_sel:DWORD src1_sel:BYTE_0
	v_lshlrev_b32_sdwa v127, v98, v35 dst_sel:DWORD dst_unused:UNUSED_PAD src0_sel:DWORD src1_sel:BYTE_0
	;; [unrolled: 1-line block ×3, first 2 shown]
	s_waitcnt vmcnt(0) lgkmcnt(0)
	s_barrier
	buffer_gl0_inv
	v_add3_u32 v32, 0, v32, v141
	v_mul_f64 v[34:35], v[70:71], v[40:41]
	v_mul_f64 v[102:103], v[76:77], v[44:45]
	;; [unrolled: 1-line block ×20, first 2 shown]
	v_fma_f64 v[28:29], v[28:29], v[38:39], -v[34:35]
	v_fma_f64 v[26:27], v[26:27], v[42:43], -v[102:103]
	v_fma_f64 v[30:31], v[30:31], v[38:39], -v[110:111]
	v_fma_f64 v[20:21], v[20:21], v[42:43], -v[112:113]
	v_fma_f64 v[16:17], v[16:17], v[46:47], -v[114:115]
	v_fma_f64 v[22:23], v[22:23], v[50:51], -v[116:117]
	v_fma_f64 v[18:19], v[18:19], v[54:55], -v[118:119]
	v_fma_f64 v[12:13], v[12:13], v[58:59], -v[120:121]
	v_fma_f64 v[24:25], v[24:25], v[62:63], -v[122:123]
	v_fma_f64 v[14:15], v[14:15], v[66:67], -v[124:125]
	v_fma_f64 v[34:35], v[70:71], v[38:39], v[98:99]
	v_fma_f64 v[70:71], v[76:77], v[42:43], v[104:105]
	v_fma_f64 v[38:39], v[72:73], v[38:39], v[40:41]
	v_fma_f64 v[40:41], v[82:83], v[42:43], v[44:45]
	v_fma_f64 v[42:43], v[86:87], v[46:47], v[48:49]
	v_fma_f64 v[44:45], v[84:85], v[50:51], v[52:53]
	v_fma_f64 v[46:47], v[88:89], v[54:55], v[56:57]
	v_fma_f64 v[48:49], v[94:95], v[58:59], v[60:61]
	v_fma_f64 v[50:51], v[74:75], v[62:63], v[64:65]
	v_fma_f64 v[52:53], v[96:97], v[66:67], v[68:69]
	v_add3_u32 v104, 0, v127, v141
	v_add3_u32 v105, 0, v126, v141
	v_add_f64 v[54:55], v[0:1], v[28:29]
	v_add_f64 v[56:57], v[28:29], v[26:27]
	;; [unrolled: 1-line block ×11, first 2 shown]
	v_add_f64 v[58:59], v[34:35], -v[70:71]
	v_add_f64 v[34:35], v[34:35], v[70:71]
	v_add_f64 v[72:73], v[38:39], -v[40:41]
	v_add_f64 v[76:77], v[78:79], v[38:39]
	v_add_f64 v[38:39], v[38:39], v[40:41]
	v_add_f64 v[84:85], v[42:43], -v[44:45]
	v_add_f64 v[86:87], v[80:81], v[42:43]
	v_add_f64 v[42:43], v[42:43], v[44:45]
	v_add_f64 v[96:97], v[46:47], v[48:49]
	v_add_f64 v[102:103], v[50:51], v[52:53]
	v_add_f64 v[94:95], v[46:47], -v[48:49]
	v_add_f64 v[28:29], v[28:29], -v[26:27]
	v_fma_f64 v[0:1], v[56:57], -0.5, v[0:1]
	v_add_f64 v[56:57], v[50:51], -v[52:53]
	v_fma_f64 v[4:5], v[62:63], -0.5, v[4:5]
	;; [unrolled: 2-line block ×4, first 2 shown]
	v_add_f64 v[46:47], v[90:91], v[46:47]
	v_fma_f64 v[10:11], v[74:75], -0.5, v[10:11]
	v_add_f64 v[18:19], v[18:19], -v[12:13]
	v_add_f64 v[50:51], v[92:93], v[50:51]
	v_add_f64 v[24:25], v[24:25], -v[14:15]
	v_add_f64 v[26:27], v[54:55], v[26:27]
	v_add_f64 v[54:55], v[60:61], v[70:71]
	v_fma_f64 v[2:3], v[34:35], -0.5, v[2:3]
	v_add_f64 v[34:35], v[76:77], v[40:41]
	v_fma_f64 v[38:39], v[38:39], -0.5, v[78:79]
	v_fma_f64 v[40:41], v[42:43], -0.5, v[80:81]
	;; [unrolled: 1-line block ×4, first 2 shown]
	v_add_f64 v[20:21], v[66:67], v[20:21]
	v_add_f64 v[22:23], v[82:83], v[22:23]
	v_fma_f64 v[62:63], v[58:59], s[0:1], v[0:1]
	v_fma_f64 v[0:1], v[58:59], s[4:5], v[0:1]
	v_fma_f64 v[58:59], v[72:73], s[0:1], v[4:5]
	v_fma_f64 v[4:5], v[72:73], s[4:5], v[4:5]
	v_fma_f64 v[64:65], v[84:85], s[0:1], v[6:7]
	v_fma_f64 v[6:7], v[84:85], s[4:5], v[6:7]
	v_add_f64 v[12:13], v[88:89], v[12:13]
	v_fma_f64 v[66:67], v[94:95], s[0:1], v[8:9]
	v_fma_f64 v[8:9], v[94:95], s[4:5], v[8:9]
	v_add_f64 v[14:15], v[98:99], v[14:15]
	v_fma_f64 v[68:69], v[56:57], s[0:1], v[10:11]
	v_fma_f64 v[10:11], v[56:57], s[4:5], v[10:11]
	v_add_nc_u32_e32 v110, 0x800, v32
	v_add_nc_u32_e32 v111, 0x800, v104
	v_add_f64 v[46:47], v[46:47], v[48:49]
	v_add_f64 v[48:49], v[50:51], v[52:53]
	v_fma_f64 v[50:51], v[28:29], s[4:5], v[2:3]
	v_fma_f64 v[28:29], v[28:29], s[0:1], v[2:3]
	;; [unrolled: 1-line block ×10, first 2 shown]
	ds_write2_b64 v143, v[26:27], v[62:63] offset1:34
	ds_write2_b64 v143, v[0:1], v[20:21] offset0:68 offset1:102
	ds_write2_b64 v143, v[58:59], v[4:5] offset0:136 offset1:170
	;; [unrolled: 1-line block ×3, first 2 shown]
	ds_write_b64 v105, v[6:7] offset:2176
	ds_write2_b64 v110, v[12:13], v[66:67] offset0:50 offset1:84
	ds_write_b64 v32, v[8:9] offset:2992
	ds_write2_b64 v111, v[14:15], v[68:69] offset0:152 offset1:186
	ds_write_b64 v104, v[10:11] offset:3808
	s_waitcnt lgkmcnt(0)
	s_barrier
	buffer_gl0_inv
	ds_read_b64 v[80:81], v142
	ds_read2_b64 v[12:15], v143 offset0:102 offset1:136
	ds_read2_b64 v[4:7], v143 offset0:170 offset1:204
	;; [unrolled: 1-line block ×7, first 2 shown]
	v_add_f64 v[44:45], v[86:87], v[44:45]
	s_waitcnt lgkmcnt(0)
	s_barrier
	buffer_gl0_inv
	ds_write2_b64 v143, v[54:55], v[50:51] offset1:34
	ds_write2_b64 v143, v[28:29], v[34:35] offset0:68 offset1:102
	ds_write2_b64 v143, v[52:53], v[30:31] offset0:136 offset1:170
	;; [unrolled: 1-line block ×3, first 2 shown]
	ds_write_b64 v105, v[40:41] offset:2176
	ds_write2_b64 v110, v[46:47], v[56:57] offset0:50 offset1:84
	ds_write_b64 v32, v[42:43] offset:2992
	ds_write2_b64 v111, v[48:49], v[70:71] offset0:152 offset1:186
	ds_write_b64 v104, v[60:61] offset:3808
	s_waitcnt lgkmcnt(0)
	s_barrier
	buffer_gl0_inv
	s_and_saveexec_b32 s0, vcc_lo
	s_cbranch_execz .LBB0_24
; %bb.23:
	v_lshlrev_b32_e32 v32, 2, v107
	v_add_nc_u32_e32 v94, 0x400, v143
	v_add_nc_u32_e32 v110, 0x800, v143
	;; [unrolled: 1-line block ×4, first 2 shown]
	v_lshlrev_b64 v[28:29], 4, v[32:33]
	v_lshlrev_b32_e32 v32, 2, v106
	v_mul_hi_u32 v124, 0xa0a0a0a1, v106
	v_mul_hi_u32 v125, 0xa0a0a0a1, v107
	v_mad_u64_u32 v[114:115], null, s2, v140, 0
	v_add_co_u32 v28, vcc_lo, s8, v28
	v_lshlrev_b64 v[30:31], 4, v[32:33]
	v_lshlrev_b32_e32 v32, 2, v140
	v_add_co_ci_u32_e32 v29, vcc_lo, s9, v29, vcc_lo
	v_mad_u64_u32 v[116:117], null, s2, v108, 0
	s_clause 0x3
	global_load_dwordx4 v[44:47], v[28:29], off offset:1376
	global_load_dwordx4 v[60:63], v[28:29], off offset:1360
	;; [unrolled: 1-line block ×4, first 2 shown]
	v_lshlrev_b64 v[28:29], 4, v[32:33]
	v_add_co_u32 v30, vcc_lo, s8, v30
	v_add_co_ci_u32_e32 v31, vcc_lo, s9, v31, vcc_lo
	s_clause 0x3
	global_load_dwordx4 v[36:39], v[30:31], off offset:1408
	global_load_dwordx4 v[32:35], v[30:31], off offset:1392
	;; [unrolled: 1-line block ×4, first 2 shown]
	v_add_co_u32 v28, vcc_lo, s8, v28
	v_add_co_ci_u32_e32 v29, vcc_lo, s9, v29, vcc_lo
	s_clause 0x3
	global_load_dwordx4 v[64:67], v[28:29], off offset:1376
	global_load_dwordx4 v[72:75], v[28:29], off offset:1360
	global_load_dwordx4 v[68:71], v[28:29], off offset:1392
	global_load_dwordx4 v[76:79], v[28:29], off offset:1408
	v_add_co_u32 v84, vcc_lo, s12, v100
	ds_read2_b64 v[86:89], v143 offset0:170 offset1:204
	ds_read2_b64 v[28:31], v143 offset0:34 offset1:68
	;; [unrolled: 1-line block ×3, first 2 shown]
	ds_read_b64 v[82:83], v142
	v_add_co_ci_u32_e32 v85, vcc_lo, s13, v101, vcc_lo
	ds_read2_b64 v[94:97], v94 offset0:110 offset1:144
	ds_read2_b64 v[98:101], v110 offset0:118 offset1:152
	;; [unrolled: 1-line block ×4, first 2 shown]
	v_mad_u64_u32 v[118:119], null, s2, v109, 0
	v_mad_u64_u32 v[120:121], null, s2, v127, 0
	;; [unrolled: 1-line block ×3, first 2 shown]
	v_lshrrev_b32_e32 v129, 6, v124
	v_lshrrev_b32_e32 v130, 6, v125
	v_mad_u64_u32 v[124:125], null, s3, v140, v[115:116]
	v_mad_u64_u32 v[125:126], null, s3, v108, v[117:118]
	;; [unrolled: 1-line block ×3, first 2 shown]
	v_mov_b32_e32 v109, v121
	v_mov_b32_e32 v115, v123
	v_mad_u32_u24 v143, 0x198, v129, v106
	v_mad_u32_u24 v145, 0x198, v130, v107
	v_mov_b32_e32 v117, v125
	s_waitcnt lgkmcnt(0)
	v_mad_u64_u32 v[106:107], null, s3, v127, v[109:110]
	v_mad_u64_u32 v[126:127], null, s3, v128, v[115:116]
	;; [unrolled: 1-line block ×3, first 2 shown]
	v_add_nc_u32_e32 v146, 0x66, v143
	v_add_nc_u32_e32 v147, 0xcc, v143
	v_mad_u64_u32 v[129:130], null, s2, v145, 0
	v_add_nc_u32_e32 v150, 0x66, v145
	v_add_nc_u32_e32 v148, 0x132, v143
	;; [unrolled: 1-line block ×4, first 2 shown]
	v_mov_b32_e32 v119, v108
	v_mad_u64_u32 v[107:108], null, s2, v146, 0
	v_add_nc_u32_e32 v152, 0x132, v145
	v_mov_b32_e32 v115, v124
	v_mad_u64_u32 v[124:125], null, s2, v147, 0
	v_mad_u64_u32 v[135:136], null, s2, v150, 0
	v_add_nc_u32_e32 v153, 0x198, v145
	v_mad_u64_u32 v[131:132], null, s2, v148, 0
	v_mad_u64_u32 v[133:134], null, s2, v149, 0
	v_mov_b32_e32 v121, v106
	v_mov_b32_e32 v106, v128
	;; [unrolled: 1-line block ×3, first 2 shown]
	v_mad_u64_u32 v[137:138], null, s2, v151, 0
	v_mad_u64_u32 v[139:140], null, s2, v152, 0
	;; [unrolled: 1-line block ×4, first 2 shown]
	v_mov_b32_e32 v106, v108
	v_mov_b32_e32 v108, v125
	v_mad_u64_u32 v[144:145], null, s3, v145, v[109:110]
	v_mov_b32_e32 v109, v136
	v_mov_b32_e32 v123, v126
	;; [unrolled: 1-line block ×5, first 2 shown]
	v_mad_u64_u32 v[145:146], null, s3, v146, v[106:107]
	v_mov_b32_e32 v130, v140
	v_mad_u64_u32 v[146:147], null, s3, v147, v[108:109]
	v_mov_b32_e32 v132, v142
	v_mad_u64_u32 v[147:148], null, s3, v148, v[125:126]
	v_mad_u64_u32 v[148:149], null, s3, v149, v[126:127]
	;; [unrolled: 1-line block ×6, first 2 shown]
	v_mov_b32_e32 v128, v143
	v_mov_b32_e32 v130, v144
	;; [unrolled: 1-line block ×10, first 2 shown]
	v_lshlrev_b64 v[126:127], 4, v[127:128]
	v_lshlrev_b64 v[128:129], 4, v[129:130]
	;; [unrolled: 1-line block ×15, first 2 shown]
	s_mov_b32 s8, 0x134454ff
	v_add_co_u32 v114, vcc_lo, v84, v114
	v_add_co_ci_u32_e32 v115, vcc_lo, v85, v115, vcc_lo
	v_add_co_u32 v116, vcc_lo, v84, v116
	v_add_co_ci_u32_e32 v117, vcc_lo, v85, v117, vcc_lo
	;; [unrolled: 2-line block ×12, first 2 shown]
	s_mov_b32 s9, 0xbfee6f0e
	s_mov_b32 s11, 0x3fee6f0e
	;; [unrolled: 1-line block ×9, first 2 shown]
	s_waitcnt vmcnt(11)
	v_mul_f64 v[140:141], v[22:23], v[46:47]
	s_waitcnt vmcnt(10)
	v_mul_f64 v[142:143], v[4:5], v[62:63]
	;; [unrolled: 2-line block ×4, first 2 shown]
	v_mul_f64 v[62:63], v[86:87], v[62:63]
	v_mul_f64 v[58:59], v[104:105], v[58:59]
	;; [unrolled: 1-line block ×4, first 2 shown]
	s_waitcnt vmcnt(7)
	v_mul_f64 v[154:155], v[24:25], v[38:39]
	s_waitcnt vmcnt(6)
	v_mul_f64 v[152:153], v[10:11], v[34:35]
	v_mul_f64 v[38:39], v[102:103], v[38:39]
	s_waitcnt vmcnt(4)
	v_mul_f64 v[150:151], v[14:15], v[54:55]
	v_mul_f64 v[34:35], v[112:113], v[34:35]
	;; [unrolled: 1-line block ×5, first 2 shown]
	s_waitcnt vmcnt(3)
	v_mul_f64 v[156:157], v[6:7], v[66:67]
	s_waitcnt vmcnt(2)
	v_mul_f64 v[158:159], v[12:13], v[74:75]
	;; [unrolled: 2-line block ×4, first 2 shown]
	v_mul_f64 v[74:75], v[90:91], v[74:75]
	v_mul_f64 v[78:79], v[100:101], v[78:79]
	;; [unrolled: 1-line block ×4, first 2 shown]
	v_fma_f64 v[96:97], v[96:97], v[44:45], v[140:141]
	v_fma_f64 v[86:87], v[86:87], v[60:61], v[142:143]
	;; [unrolled: 1-line block ×4, first 2 shown]
	v_fma_f64 v[4:5], v[4:5], v[60:61], -v[62:63]
	v_fma_f64 v[26:27], v[26:27], v[56:57], -v[58:59]
	;; [unrolled: 1-line block ×4, first 2 shown]
	v_fma_f64 v[48:49], v[112:113], v[32:33], v[152:153]
	v_fma_f64 v[46:47], v[92:93], v[52:53], v[150:151]
	;; [unrolled: 1-line block ×3, first 2 shown]
	v_fma_f64 v[24:25], v[24:25], v[36:37], -v[38:39]
	v_fma_f64 v[10:11], v[10:11], v[32:33], -v[34:35]
	;; [unrolled: 1-line block ×3, first 2 shown]
	v_fma_f64 v[32:33], v[88:89], v[64:65], v[156:157]
	v_fma_f64 v[34:35], v[90:91], v[72:73], v[158:159]
	;; [unrolled: 1-line block ×4, first 2 shown]
	v_fma_f64 v[12:13], v[12:13], v[72:73], -v[74:75]
	v_fma_f64 v[18:19], v[18:19], v[76:77], -v[78:79]
	v_fma_f64 v[6:7], v[6:7], v[64:65], -v[66:67]
	v_fma_f64 v[8:9], v[8:9], v[68:69], -v[70:71]
	v_fma_f64 v[20:21], v[20:21], v[40:41], -v[42:43]
	v_fma_f64 v[44:45], v[94:95], v[40:41], v[148:149]
	v_add_f64 v[40:41], v[96:97], -v[86:87]
	v_add_f64 v[42:43], v[98:99], -v[104:105]
	v_add_f64 v[54:55], v[86:87], v[104:105]
	v_add_f64 v[52:53], v[4:5], -v[26:27]
	v_add_f64 v[58:59], v[86:87], -v[96:97]
	;; [unrolled: 1-line block ×3, first 2 shown]
	v_add_f64 v[64:65], v[96:97], v[98:99]
	v_add_f64 v[66:67], v[86:87], v[30:31]
	v_add_f64 v[68:69], v[22:23], -v[4:5]
	v_add_f64 v[74:75], v[4:5], v[26:27]
	v_add_f64 v[78:79], v[4:5], -v[22:23]
	v_add_f64 v[88:89], v[22:23], v[16:17]
	v_add_f64 v[4:5], v[2:3], v[4:5]
	;; [unrolled: 1-line block ×5, first 2 shown]
	v_add_f64 v[94:95], v[14:15], -v[24:25]
	v_add_f64 v[180:181], v[12:13], v[18:19]
	v_add_f64 v[140:141], v[46:47], v[28:29]
	v_add_f64 v[186:187], v[6:7], v[8:9]
	v_add_f64 v[142:143], v[20:21], -v[14:15]
	v_add_f64 v[148:149], v[14:15], v[24:25]
	v_add_f64 v[150:151], v[14:15], -v[20:21]
	v_add_f64 v[14:15], v[0:1], v[14:15]
	v_add_f64 v[172:173], v[34:35], v[82:83]
	v_add_co_u32 v60, vcc_lo, v84, v134
	v_add_co_ci_u32_e32 v61, vcc_lo, v85, v135, vcc_lo
	v_add_f64 v[76:77], v[86:87], -v[104:105]
	v_add_f64 v[86:87], v[26:27], -v[16:17]
	v_add_f64 v[134:135], v[44:45], v[48:49]
	v_add_f64 v[154:155], v[20:21], v[10:11]
	v_add_f64 v[160:161], v[12:13], -v[18:19]
	v_add_f64 v[174:175], v[6:7], -v[12:13]
	;; [unrolled: 1-line block ×3, first 2 shown]
	v_add_f64 v[12:13], v[80:81], v[12:13]
	v_add_f64 v[56:57], v[22:23], -v[16:17]
	v_add_f64 v[70:71], v[16:17], -v[26:27]
	;; [unrolled: 1-line block ×10, first 2 shown]
	v_add_f64 v[40:41], v[40:41], v[42:43]
	v_fma_f64 v[42:43], v[54:55], -0.5, v[30:31]
	v_add_f64 v[54:55], v[58:59], v[62:63]
	v_fma_f64 v[30:31], v[64:65], -0.5, v[30:31]
	;; [unrolled: 2-line block ×3, first 2 shown]
	v_fma_f64 v[2:3], v[88:89], -0.5, v[2:3]
	v_add_f64 v[4:5], v[22:23], v[4:5]
	v_fma_f64 v[22:23], v[100:101], -0.5, v[28:29]
	v_fma_f64 v[88:89], v[162:163], -0.5, v[82:83]
	;; [unrolled: 1-line block ×5, first 2 shown]
	v_add_f64 v[90:91], v[44:45], -v[46:47]
	v_add_f64 v[146:147], v[44:45], -v[48:49]
	v_add_f64 v[164:165], v[6:7], -v[8:9]
	v_add_f64 v[178:179], v[32:33], -v[36:37]
	v_add_f64 v[44:45], v[44:45], v[140:141]
	v_add_f64 v[14:15], v[20:21], v[14:15]
	;; [unrolled: 1-line block ×3, first 2 shown]
	v_add_f64 v[144:145], v[10:11], -v[24:25]
	v_add_f64 v[46:47], v[46:47], -v[50:51]
	v_add_f64 v[66:67], v[78:79], v[86:87]
	v_fma_f64 v[28:29], v[134:135], -0.5, v[28:29]
	v_fma_f64 v[78:79], v[148:149], -0.5, v[0:1]
	;; [unrolled: 1-line block ×3, first 2 shown]
	v_add_f64 v[6:7], v[6:7], v[12:13]
	v_add_f64 v[92:93], v[48:49], -v[50:51]
	v_add_f64 v[168:169], v[38:39], -v[36:37]
	;; [unrolled: 1-line block ×3, first 2 shown]
	v_add_f64 v[62:63], v[68:69], v[70:71]
	v_add_f64 v[70:71], v[110:111], v[112:113]
	;; [unrolled: 1-line block ×3, first 2 shown]
	v_fma_f64 v[12:13], v[56:57], s[8:9], v[42:43]
	v_fma_f64 v[42:43], v[56:57], s[10:11], v[42:43]
	;; [unrolled: 1-line block ×4, first 2 shown]
	v_add_f64 v[4:5], v[4:5], v[16:17]
	v_fma_f64 v[16:17], v[102:103], s[8:9], v[22:23]
	v_fma_f64 v[22:23], v[102:103], s[10:11], v[22:23]
	;; [unrolled: 1-line block ×5, first 2 shown]
	v_add_f64 v[158:159], v[36:37], -v[38:39]
	v_add_f64 v[176:177], v[8:9], -v[18:19]
	v_add_f64 v[44:45], v[48:49], v[44:45]
	v_add_f64 v[10:11], v[14:15], v[10:11]
	v_fma_f64 v[14:15], v[164:165], s[8:9], v[88:89]
	v_fma_f64 v[88:89], v[164:165], s[10:11], v[88:89]
	v_add_f64 v[32:33], v[36:37], v[32:33]
	v_fma_f64 v[36:37], v[178:179], s[10:11], v[96:97]
	v_fma_f64 v[96:97], v[178:179], s[8:9], v[96:97]
	;; [unrolled: 1-line block ×3, first 2 shown]
	v_add_f64 v[74:75], v[142:143], v[144:145]
	v_add_f64 v[58:59], v[98:99], v[58:59]
	v_fma_f64 v[140:141], v[94:95], s[10:11], v[28:29]
	v_fma_f64 v[28:29], v[94:95], s[8:9], v[28:29]
	v_fma_f64 v[144:145], v[46:47], s[10:11], v[0:1]
	v_fma_f64 v[48:49], v[146:147], s[10:11], v[78:79]
	v_fma_f64 v[78:79], v[146:147], s[8:9], v[78:79]
	v_fma_f64 v[142:143], v[46:47], s[8:9], v[0:1]
	v_fma_f64 v[98:99], v[72:73], s[10:11], v[64:65]
	v_fma_f64 v[64:65], v[72:73], s[8:9], v[64:65]
	v_fma_f64 v[112:113], v[76:77], s[8:9], v[2:3]
	v_fma_f64 v[134:135], v[76:77], s[10:11], v[2:3]
	v_add_f64 v[8:9], v[6:7], v[8:9]
	v_add_f64 v[68:69], v[90:91], v[92:93]
	;; [unrolled: 1-line block ×4, first 2 shown]
	v_fma_f64 v[12:13], v[52:53], s[4:5], v[12:13]
	v_fma_f64 v[42:43], v[52:53], s[6:7], v[42:43]
	;; [unrolled: 1-line block ×8, first 2 shown]
	v_add_f64 v[20:21], v[156:157], v[158:159]
	v_add_f64 v[92:93], v[174:175], v[176:177]
	;; [unrolled: 1-line block ×3, first 2 shown]
	v_fma_f64 v[44:45], v[160:161], s[4:5], v[14:15]
	v_fma_f64 v[50:51], v[160:161], s[6:7], v[88:89]
	;; [unrolled: 1-line block ×6, first 2 shown]
	v_add_f64 v[2:3], v[104:105], v[58:59]
	v_fma_f64 v[58:59], v[102:103], s[4:5], v[140:141]
	v_fma_f64 v[28:29], v[102:103], s[6:7], v[28:29]
	;; [unrolled: 1-line block ×10, first 2 shown]
	v_add_f64 v[0:1], v[4:5], v[26:27]
	v_add_f64 v[4:5], v[10:11], v[24:25]
	;; [unrolled: 1-line block ×4, first 2 shown]
	v_fma_f64 v[22:23], v[54:55], s[0:1], v[52:53]
	v_fma_f64 v[26:27], v[54:55], s[0:1], v[30:31]
	;; [unrolled: 1-line block ×24, first 2 shown]
	v_add_co_u32 v62, vcc_lo, v84, v136
	v_add_co_ci_u32_e32 v63, vcc_lo, v85, v137, vcc_lo
	v_add_co_u32 v64, vcc_lo, v84, v138
	v_add_co_ci_u32_e32 v65, vcc_lo, v85, v139, vcc_lo
	global_store_dwordx4 v[114:115], v[8:11], off
	global_store_dwordx4 v[116:117], v[52:55], off
	;; [unrolled: 1-line block ×15, first 2 shown]
.LBB0_24:
	s_endpgm
	.section	.rodata,"a",@progbits
	.p2align	6, 0x0
	.amdhsa_kernel fft_rtc_fwd_len510_factors_17_2_3_5_wgs_238_tpt_34_halfLds_dp_ip_CI_sbrr_dirReg
		.amdhsa_group_segment_fixed_size 0
		.amdhsa_private_segment_fixed_size 0
		.amdhsa_kernarg_size 88
		.amdhsa_user_sgpr_count 6
		.amdhsa_user_sgpr_private_segment_buffer 1
		.amdhsa_user_sgpr_dispatch_ptr 0
		.amdhsa_user_sgpr_queue_ptr 0
		.amdhsa_user_sgpr_kernarg_segment_ptr 1
		.amdhsa_user_sgpr_dispatch_id 0
		.amdhsa_user_sgpr_flat_scratch_init 0
		.amdhsa_user_sgpr_private_segment_size 0
		.amdhsa_wavefront_size32 1
		.amdhsa_uses_dynamic_stack 0
		.amdhsa_system_sgpr_private_segment_wavefront_offset 0
		.amdhsa_system_sgpr_workgroup_id_x 1
		.amdhsa_system_sgpr_workgroup_id_y 0
		.amdhsa_system_sgpr_workgroup_id_z 0
		.amdhsa_system_sgpr_workgroup_info 0
		.amdhsa_system_vgpr_workitem_id 0
		.amdhsa_next_free_vgpr 256
		.amdhsa_next_free_sgpr 58
		.amdhsa_reserve_vcc 1
		.amdhsa_reserve_flat_scratch 0
		.amdhsa_float_round_mode_32 0
		.amdhsa_float_round_mode_16_64 0
		.amdhsa_float_denorm_mode_32 3
		.amdhsa_float_denorm_mode_16_64 3
		.amdhsa_dx10_clamp 1
		.amdhsa_ieee_mode 1
		.amdhsa_fp16_overflow 0
		.amdhsa_workgroup_processor_mode 1
		.amdhsa_memory_ordered 1
		.amdhsa_forward_progress 0
		.amdhsa_shared_vgpr_count 0
		.amdhsa_exception_fp_ieee_invalid_op 0
		.amdhsa_exception_fp_denorm_src 0
		.amdhsa_exception_fp_ieee_div_zero 0
		.amdhsa_exception_fp_ieee_overflow 0
		.amdhsa_exception_fp_ieee_underflow 0
		.amdhsa_exception_fp_ieee_inexact 0
		.amdhsa_exception_int_div_zero 0
	.end_amdhsa_kernel
	.text
.Lfunc_end0:
	.size	fft_rtc_fwd_len510_factors_17_2_3_5_wgs_238_tpt_34_halfLds_dp_ip_CI_sbrr_dirReg, .Lfunc_end0-fft_rtc_fwd_len510_factors_17_2_3_5_wgs_238_tpt_34_halfLds_dp_ip_CI_sbrr_dirReg
                                        ; -- End function
	.section	.AMDGPU.csdata,"",@progbits
; Kernel info:
; codeLenInByte = 15516
; NumSgprs: 60
; NumVgprs: 256
; ScratchSize: 0
; MemoryBound: 1
; FloatMode: 240
; IeeeMode: 1
; LDSByteSize: 0 bytes/workgroup (compile time only)
; SGPRBlocks: 7
; VGPRBlocks: 31
; NumSGPRsForWavesPerEU: 60
; NumVGPRsForWavesPerEU: 256
; Occupancy: 4
; WaveLimiterHint : 1
; COMPUTE_PGM_RSRC2:SCRATCH_EN: 0
; COMPUTE_PGM_RSRC2:USER_SGPR: 6
; COMPUTE_PGM_RSRC2:TRAP_HANDLER: 0
; COMPUTE_PGM_RSRC2:TGID_X_EN: 1
; COMPUTE_PGM_RSRC2:TGID_Y_EN: 0
; COMPUTE_PGM_RSRC2:TGID_Z_EN: 0
; COMPUTE_PGM_RSRC2:TIDIG_COMP_CNT: 0
	.text
	.p2alignl 6, 3214868480
	.fill 48, 4, 3214868480
	.type	__hip_cuid_5ec579699bf68546,@object ; @__hip_cuid_5ec579699bf68546
	.section	.bss,"aw",@nobits
	.globl	__hip_cuid_5ec579699bf68546
__hip_cuid_5ec579699bf68546:
	.byte	0                               ; 0x0
	.size	__hip_cuid_5ec579699bf68546, 1

	.ident	"AMD clang version 19.0.0git (https://github.com/RadeonOpenCompute/llvm-project roc-6.4.0 25133 c7fe45cf4b819c5991fe208aaa96edf142730f1d)"
	.section	".note.GNU-stack","",@progbits
	.addrsig
	.addrsig_sym __hip_cuid_5ec579699bf68546
	.amdgpu_metadata
---
amdhsa.kernels:
  - .args:
      - .actual_access:  read_only
        .address_space:  global
        .offset:         0
        .size:           8
        .value_kind:     global_buffer
      - .offset:         8
        .size:           8
        .value_kind:     by_value
      - .actual_access:  read_only
        .address_space:  global
        .offset:         16
        .size:           8
        .value_kind:     global_buffer
      - .actual_access:  read_only
        .address_space:  global
        .offset:         24
        .size:           8
        .value_kind:     global_buffer
      - .offset:         32
        .size:           8
        .value_kind:     by_value
      - .actual_access:  read_only
        .address_space:  global
        .offset:         40
        .size:           8
        .value_kind:     global_buffer
      - .actual_access:  read_only
        .address_space:  global
        .offset:         48
        .size:           8
        .value_kind:     global_buffer
      - .offset:         56
        .size:           4
        .value_kind:     by_value
      - .actual_access:  read_only
        .address_space:  global
        .offset:         64
        .size:           8
        .value_kind:     global_buffer
      - .actual_access:  read_only
        .address_space:  global
        .offset:         72
        .size:           8
        .value_kind:     global_buffer
      - .address_space:  global
        .offset:         80
        .size:           8
        .value_kind:     global_buffer
    .group_segment_fixed_size: 0
    .kernarg_segment_align: 8
    .kernarg_segment_size: 88
    .language:       OpenCL C
    .language_version:
      - 2
      - 0
    .max_flat_workgroup_size: 238
    .name:           fft_rtc_fwd_len510_factors_17_2_3_5_wgs_238_tpt_34_halfLds_dp_ip_CI_sbrr_dirReg
    .private_segment_fixed_size: 0
    .sgpr_count:     60
    .sgpr_spill_count: 0
    .symbol:         fft_rtc_fwd_len510_factors_17_2_3_5_wgs_238_tpt_34_halfLds_dp_ip_CI_sbrr_dirReg.kd
    .uniform_work_group_size: 1
    .uses_dynamic_stack: false
    .vgpr_count:     256
    .vgpr_spill_count: 0
    .wavefront_size: 32
    .workgroup_processor_mode: 1
amdhsa.target:   amdgcn-amd-amdhsa--gfx1030
amdhsa.version:
  - 1
  - 2
...

	.end_amdgpu_metadata
